;; amdgpu-corpus repo=ROCm/rccl kind=compiled arch=gfx1201 opt=O3
	.amdgcn_target "amdgcn-amd-amdhsa--gfx1201"
	.amdhsa_code_object_version 6
	.text
	.protected	_Z10PingKernelPmS_S_    ; -- Begin function _Z10PingKernelPmS_S_
	.globl	_Z10PingKernelPmS_S_
	.p2align	8
	.type	_Z10PingKernelPmS_S_,@function
_Z10PingKernelPmS_S_:                   ; @_Z10PingKernelPmS_S_
; %bb.0:
	s_clause 0x1
	s_load_b128 s[4:7], s[0:1], 0x0
	s_load_b64 s[0:1], s[0:1], 0x10
	v_mov_b32_e32 v0, 0
	s_mov_b32 s2, 1
	s_mov_b32 s3, 0
.LBB0_1:                                ; =>This Loop Header: Depth=1
                                        ;     Child Loop BB0_2 Depth 2
                                        ;     Child Loop BB0_4 Depth 2
	;; [unrolled: 1-line block ×1000, first 2 shown]
	s_delay_alu instid0(SALU_CYCLE_1)
	v_dual_mov_b32 v1, s2 :: v_dual_mov_b32 v2, s3
	s_wait_kmcnt 0x0
	global_store_b64 v0, v[1:2], s[6:7] scope:SCOPE_SYS
.LBB0_2:                                ;   Parent Loop BB0_1 Depth=1
                                        ; =>  This Inner Loop Header: Depth=2
	global_load_b64 v[1:2], v0, s[4:5] scope:SCOPE_SYS
	s_wait_loadcnt 0x0
	v_cmp_ne_u64_e32 vcc_lo, s[2:3], v[1:2]
	s_cbranch_vccnz .LBB0_2
; %bb.3:                                ;   in Loop: Header=BB0_1 Depth=1
	s_add_co_i32 s8, s2, 1
	s_mov_b32 s9, s3
	s_wait_alu 0xfffe
	v_dual_mov_b32 v1, s8 :: v_dual_mov_b32 v2, s9
	global_store_b64 v0, v[1:2], s[6:7] scope:SCOPE_SYS
.LBB0_4:                                ;   Parent Loop BB0_1 Depth=1
                                        ; =>  This Inner Loop Header: Depth=2
	global_load_b64 v[1:2], v0, s[4:5] scope:SCOPE_SYS
	s_wait_loadcnt 0x0
	v_cmp_ne_u64_e32 vcc_lo, s[8:9], v[1:2]
	s_cbranch_vccnz .LBB0_4
; %bb.5:                                ;   in Loop: Header=BB0_1 Depth=1
	s_add_co_i32 s8, s2, 2
	s_mov_b32 s9, s3
	s_wait_alu 0xfffe
	v_dual_mov_b32 v1, s8 :: v_dual_mov_b32 v2, s9
	global_store_b64 v0, v[1:2], s[6:7] scope:SCOPE_SYS
.LBB0_6:                                ;   Parent Loop BB0_1 Depth=1
                                        ; =>  This Inner Loop Header: Depth=2
	global_load_b64 v[1:2], v0, s[4:5] scope:SCOPE_SYS
	s_wait_loadcnt 0x0
	v_cmp_ne_u64_e32 vcc_lo, s[8:9], v[1:2]
	s_cbranch_vccnz .LBB0_6
; %bb.7:                                ;   in Loop: Header=BB0_1 Depth=1
	s_add_co_i32 s8, s2, 3
	s_mov_b32 s9, s3
	s_wait_alu 0xfffe
	v_dual_mov_b32 v1, s8 :: v_dual_mov_b32 v2, s9
	global_store_b64 v0, v[1:2], s[6:7] scope:SCOPE_SYS
.LBB0_8:                                ;   Parent Loop BB0_1 Depth=1
                                        ; =>  This Inner Loop Header: Depth=2
	global_load_b64 v[1:2], v0, s[4:5] scope:SCOPE_SYS
	s_wait_loadcnt 0x0
	v_cmp_ne_u64_e32 vcc_lo, s[8:9], v[1:2]
	s_cbranch_vccnz .LBB0_8
; %bb.9:                                ;   in Loop: Header=BB0_1 Depth=1
	s_add_co_i32 s8, s2, 4
	s_mov_b32 s9, s3
	s_wait_alu 0xfffe
	v_dual_mov_b32 v1, s8 :: v_dual_mov_b32 v2, s9
	global_store_b64 v0, v[1:2], s[6:7] scope:SCOPE_SYS
.LBB0_10:                               ;   Parent Loop BB0_1 Depth=1
                                        ; =>  This Inner Loop Header: Depth=2
	global_load_b64 v[1:2], v0, s[4:5] scope:SCOPE_SYS
	s_wait_loadcnt 0x0
	v_cmp_ne_u64_e32 vcc_lo, s[8:9], v[1:2]
	s_cbranch_vccnz .LBB0_10
; %bb.11:                               ;   in Loop: Header=BB0_1 Depth=1
	s_add_co_i32 s8, s2, 5
	s_mov_b32 s9, s3
	s_wait_alu 0xfffe
	v_dual_mov_b32 v1, s8 :: v_dual_mov_b32 v2, s9
	global_store_b64 v0, v[1:2], s[6:7] scope:SCOPE_SYS
.LBB0_12:                               ;   Parent Loop BB0_1 Depth=1
                                        ; =>  This Inner Loop Header: Depth=2
	global_load_b64 v[1:2], v0, s[4:5] scope:SCOPE_SYS
	s_wait_loadcnt 0x0
	v_cmp_ne_u64_e32 vcc_lo, s[8:9], v[1:2]
	s_cbranch_vccnz .LBB0_12
; %bb.13:                               ;   in Loop: Header=BB0_1 Depth=1
	s_add_co_i32 s8, s2, 6
	s_mov_b32 s9, s3
	s_wait_alu 0xfffe
	v_dual_mov_b32 v1, s8 :: v_dual_mov_b32 v2, s9
	;; [unrolled: 12-line block ×45, first 2 shown]
	global_store_b64 v0, v[1:2], s[6:7] scope:SCOPE_SYS
.LBB0_100:                              ;   Parent Loop BB0_1 Depth=1
                                        ; =>  This Inner Loop Header: Depth=2
	global_load_b64 v[1:2], v0, s[4:5] scope:SCOPE_SYS
	s_wait_loadcnt 0x0
	v_cmp_ne_u64_e32 vcc_lo, s[8:9], v[1:2]
	s_cbranch_vccnz .LBB0_100
; %bb.101:                              ;   in Loop: Header=BB0_1 Depth=1
	s_add_co_i32 s8, s2, 50
	s_mov_b32 s9, s3
	s_wait_alu 0xfffe
	v_dual_mov_b32 v1, s8 :: v_dual_mov_b32 v2, s9
	global_store_b64 v0, v[1:2], s[6:7] scope:SCOPE_SYS
.LBB0_102:                              ;   Parent Loop BB0_1 Depth=1
                                        ; =>  This Inner Loop Header: Depth=2
	global_load_b64 v[1:2], v0, s[4:5] scope:SCOPE_SYS
	s_wait_loadcnt 0x0
	v_cmp_ne_u64_e32 vcc_lo, s[8:9], v[1:2]
	s_cbranch_vccnz .LBB0_102
; %bb.103:                              ;   in Loop: Header=BB0_1 Depth=1
	s_add_co_i32 s8, s2, 51
	s_mov_b32 s9, s3
	s_wait_alu 0xfffe
	v_dual_mov_b32 v1, s8 :: v_dual_mov_b32 v2, s9
	global_store_b64 v0, v[1:2], s[6:7] scope:SCOPE_SYS
.LBB0_104:                              ;   Parent Loop BB0_1 Depth=1
                                        ; =>  This Inner Loop Header: Depth=2
	global_load_b64 v[1:2], v0, s[4:5] scope:SCOPE_SYS
	s_wait_loadcnt 0x0
	v_cmp_ne_u64_e32 vcc_lo, s[8:9], v[1:2]
	s_cbranch_vccnz .LBB0_104
; %bb.105:                              ;   in Loop: Header=BB0_1 Depth=1
	s_add_co_i32 s8, s2, 52
	s_mov_b32 s9, s3
	s_wait_alu 0xfffe
	v_dual_mov_b32 v1, s8 :: v_dual_mov_b32 v2, s9
	global_store_b64 v0, v[1:2], s[6:7] scope:SCOPE_SYS
.LBB0_106:                              ;   Parent Loop BB0_1 Depth=1
                                        ; =>  This Inner Loop Header: Depth=2
	global_load_b64 v[1:2], v0, s[4:5] scope:SCOPE_SYS
	s_wait_loadcnt 0x0
	v_cmp_ne_u64_e32 vcc_lo, s[8:9], v[1:2]
	s_cbranch_vccnz .LBB0_106
; %bb.107:                              ;   in Loop: Header=BB0_1 Depth=1
	s_add_co_i32 s8, s2, 53
	s_mov_b32 s9, s3
	s_wait_alu 0xfffe
	v_dual_mov_b32 v1, s8 :: v_dual_mov_b32 v2, s9
	global_store_b64 v0, v[1:2], s[6:7] scope:SCOPE_SYS
.LBB0_108:                              ;   Parent Loop BB0_1 Depth=1
                                        ; =>  This Inner Loop Header: Depth=2
	global_load_b64 v[1:2], v0, s[4:5] scope:SCOPE_SYS
	s_wait_loadcnt 0x0
	v_cmp_ne_u64_e32 vcc_lo, s[8:9], v[1:2]
	s_cbranch_vccnz .LBB0_108
; %bb.109:                              ;   in Loop: Header=BB0_1 Depth=1
	s_add_co_i32 s8, s2, 54
	s_mov_b32 s9, s3
	s_wait_alu 0xfffe
	v_dual_mov_b32 v1, s8 :: v_dual_mov_b32 v2, s9
	global_store_b64 v0, v[1:2], s[6:7] scope:SCOPE_SYS
.LBB0_110:                              ;   Parent Loop BB0_1 Depth=1
                                        ; =>  This Inner Loop Header: Depth=2
	global_load_b64 v[1:2], v0, s[4:5] scope:SCOPE_SYS
	s_wait_loadcnt 0x0
	v_cmp_ne_u64_e32 vcc_lo, s[8:9], v[1:2]
	s_cbranch_vccnz .LBB0_110
; %bb.111:                              ;   in Loop: Header=BB0_1 Depth=1
	s_add_co_i32 s8, s2, 55
	s_mov_b32 s9, s3
	s_wait_alu 0xfffe
	v_dual_mov_b32 v1, s8 :: v_dual_mov_b32 v2, s9
	global_store_b64 v0, v[1:2], s[6:7] scope:SCOPE_SYS
.LBB0_112:                              ;   Parent Loop BB0_1 Depth=1
                                        ; =>  This Inner Loop Header: Depth=2
	global_load_b64 v[1:2], v0, s[4:5] scope:SCOPE_SYS
	s_wait_loadcnt 0x0
	v_cmp_ne_u64_e32 vcc_lo, s[8:9], v[1:2]
	s_cbranch_vccnz .LBB0_112
; %bb.113:                              ;   in Loop: Header=BB0_1 Depth=1
	s_add_co_i32 s8, s2, 56
	s_mov_b32 s9, s3
	s_wait_alu 0xfffe
	v_dual_mov_b32 v1, s8 :: v_dual_mov_b32 v2, s9
	global_store_b64 v0, v[1:2], s[6:7] scope:SCOPE_SYS
.LBB0_114:                              ;   Parent Loop BB0_1 Depth=1
                                        ; =>  This Inner Loop Header: Depth=2
	global_load_b64 v[1:2], v0, s[4:5] scope:SCOPE_SYS
	s_wait_loadcnt 0x0
	v_cmp_ne_u64_e32 vcc_lo, s[8:9], v[1:2]
	s_cbranch_vccnz .LBB0_114
; %bb.115:                              ;   in Loop: Header=BB0_1 Depth=1
	s_add_co_i32 s8, s2, 57
	s_mov_b32 s9, s3
	s_wait_alu 0xfffe
	v_dual_mov_b32 v1, s8 :: v_dual_mov_b32 v2, s9
	global_store_b64 v0, v[1:2], s[6:7] scope:SCOPE_SYS
.LBB0_116:                              ;   Parent Loop BB0_1 Depth=1
                                        ; =>  This Inner Loop Header: Depth=2
	global_load_b64 v[1:2], v0, s[4:5] scope:SCOPE_SYS
	s_wait_loadcnt 0x0
	v_cmp_ne_u64_e32 vcc_lo, s[8:9], v[1:2]
	s_cbranch_vccnz .LBB0_116
; %bb.117:                              ;   in Loop: Header=BB0_1 Depth=1
	s_add_co_i32 s8, s2, 58
	s_mov_b32 s9, s3
	s_wait_alu 0xfffe
	v_dual_mov_b32 v1, s8 :: v_dual_mov_b32 v2, s9
	global_store_b64 v0, v[1:2], s[6:7] scope:SCOPE_SYS
.LBB0_118:                              ;   Parent Loop BB0_1 Depth=1
                                        ; =>  This Inner Loop Header: Depth=2
	global_load_b64 v[1:2], v0, s[4:5] scope:SCOPE_SYS
	s_wait_loadcnt 0x0
	v_cmp_ne_u64_e32 vcc_lo, s[8:9], v[1:2]
	s_cbranch_vccnz .LBB0_118
; %bb.119:                              ;   in Loop: Header=BB0_1 Depth=1
	s_add_co_i32 s8, s2, 59
	s_mov_b32 s9, s3
	s_wait_alu 0xfffe
	v_dual_mov_b32 v1, s8 :: v_dual_mov_b32 v2, s9
	global_store_b64 v0, v[1:2], s[6:7] scope:SCOPE_SYS
.LBB0_120:                              ;   Parent Loop BB0_1 Depth=1
                                        ; =>  This Inner Loop Header: Depth=2
	global_load_b64 v[1:2], v0, s[4:5] scope:SCOPE_SYS
	s_wait_loadcnt 0x0
	v_cmp_ne_u64_e32 vcc_lo, s[8:9], v[1:2]
	s_cbranch_vccnz .LBB0_120
; %bb.121:                              ;   in Loop: Header=BB0_1 Depth=1
	s_add_co_i32 s8, s2, 60
	s_mov_b32 s9, s3
	s_wait_alu 0xfffe
	v_dual_mov_b32 v1, s8 :: v_dual_mov_b32 v2, s9
	global_store_b64 v0, v[1:2], s[6:7] scope:SCOPE_SYS
.LBB0_122:                              ;   Parent Loop BB0_1 Depth=1
                                        ; =>  This Inner Loop Header: Depth=2
	global_load_b64 v[1:2], v0, s[4:5] scope:SCOPE_SYS
	s_wait_loadcnt 0x0
	v_cmp_ne_u64_e32 vcc_lo, s[8:9], v[1:2]
	s_cbranch_vccnz .LBB0_122
; %bb.123:                              ;   in Loop: Header=BB0_1 Depth=1
	s_add_co_i32 s8, s2, 61
	s_mov_b32 s9, s3
	s_wait_alu 0xfffe
	v_dual_mov_b32 v1, s8 :: v_dual_mov_b32 v2, s9
	global_store_b64 v0, v[1:2], s[6:7] scope:SCOPE_SYS
.LBB0_124:                              ;   Parent Loop BB0_1 Depth=1
                                        ; =>  This Inner Loop Header: Depth=2
	global_load_b64 v[1:2], v0, s[4:5] scope:SCOPE_SYS
	s_wait_loadcnt 0x0
	v_cmp_ne_u64_e32 vcc_lo, s[8:9], v[1:2]
	s_cbranch_vccnz .LBB0_124
; %bb.125:                              ;   in Loop: Header=BB0_1 Depth=1
	s_add_co_i32 s8, s2, 62
	s_mov_b32 s9, s3
	s_wait_alu 0xfffe
	v_dual_mov_b32 v1, s8 :: v_dual_mov_b32 v2, s9
	global_store_b64 v0, v[1:2], s[6:7] scope:SCOPE_SYS
.LBB0_126:                              ;   Parent Loop BB0_1 Depth=1
                                        ; =>  This Inner Loop Header: Depth=2
	global_load_b64 v[1:2], v0, s[4:5] scope:SCOPE_SYS
	s_wait_loadcnt 0x0
	v_cmp_ne_u64_e32 vcc_lo, s[8:9], v[1:2]
	s_cbranch_vccnz .LBB0_126
; %bb.127:                              ;   in Loop: Header=BB0_1 Depth=1
	s_add_co_i32 s8, s2, 63
	s_mov_b32 s9, s3
	s_wait_alu 0xfffe
	v_dual_mov_b32 v1, s8 :: v_dual_mov_b32 v2, s9
	global_store_b64 v0, v[1:2], s[6:7] scope:SCOPE_SYS
.LBB0_128:                              ;   Parent Loop BB0_1 Depth=1
                                        ; =>  This Inner Loop Header: Depth=2
	global_load_b64 v[1:2], v0, s[4:5] scope:SCOPE_SYS
	s_wait_loadcnt 0x0
	v_cmp_ne_u64_e32 vcc_lo, s[8:9], v[1:2]
	s_cbranch_vccnz .LBB0_128
; %bb.129:                              ;   in Loop: Header=BB0_1 Depth=1
	s_add_co_i32 s8, s2, 64
	s_mov_b32 s9, s3
	s_wait_alu 0xfffe
	v_dual_mov_b32 v1, s8 :: v_dual_mov_b32 v2, s9
	global_store_b64 v0, v[1:2], s[6:7] scope:SCOPE_SYS
.LBB0_130:                              ;   Parent Loop BB0_1 Depth=1
                                        ; =>  This Inner Loop Header: Depth=2
	global_load_b64 v[1:2], v0, s[4:5] scope:SCOPE_SYS
	s_wait_loadcnt 0x0
	v_cmp_ne_u64_e32 vcc_lo, s[8:9], v[1:2]
	s_cbranch_vccnz .LBB0_130
; %bb.131:                              ;   in Loop: Header=BB0_1 Depth=1
	s_add_co_i32 s8, s2, 0x41
	s_mov_b32 s9, s3
	s_wait_alu 0xfffe
	v_dual_mov_b32 v1, s8 :: v_dual_mov_b32 v2, s9
	global_store_b64 v0, v[1:2], s[6:7] scope:SCOPE_SYS
.LBB0_132:                              ;   Parent Loop BB0_1 Depth=1
                                        ; =>  This Inner Loop Header: Depth=2
	global_load_b64 v[1:2], v0, s[4:5] scope:SCOPE_SYS
	s_wait_loadcnt 0x0
	v_cmp_ne_u64_e32 vcc_lo, s[8:9], v[1:2]
	s_cbranch_vccnz .LBB0_132
; %bb.133:                              ;   in Loop: Header=BB0_1 Depth=1
	s_add_co_i32 s8, s2, 0x42
	s_mov_b32 s9, s3
	s_wait_alu 0xfffe
	v_dual_mov_b32 v1, s8 :: v_dual_mov_b32 v2, s9
	global_store_b64 v0, v[1:2], s[6:7] scope:SCOPE_SYS
.LBB0_134:                              ;   Parent Loop BB0_1 Depth=1
                                        ; =>  This Inner Loop Header: Depth=2
	global_load_b64 v[1:2], v0, s[4:5] scope:SCOPE_SYS
	s_wait_loadcnt 0x0
	v_cmp_ne_u64_e32 vcc_lo, s[8:9], v[1:2]
	s_cbranch_vccnz .LBB0_134
; %bb.135:                              ;   in Loop: Header=BB0_1 Depth=1
	s_add_co_i32 s8, s2, 0x43
	s_mov_b32 s9, s3
	s_wait_alu 0xfffe
	v_dual_mov_b32 v1, s8 :: v_dual_mov_b32 v2, s9
	global_store_b64 v0, v[1:2], s[6:7] scope:SCOPE_SYS
.LBB0_136:                              ;   Parent Loop BB0_1 Depth=1
                                        ; =>  This Inner Loop Header: Depth=2
	global_load_b64 v[1:2], v0, s[4:5] scope:SCOPE_SYS
	s_wait_loadcnt 0x0
	v_cmp_ne_u64_e32 vcc_lo, s[8:9], v[1:2]
	s_cbranch_vccnz .LBB0_136
; %bb.137:                              ;   in Loop: Header=BB0_1 Depth=1
	s_add_co_i32 s8, s2, 0x44
	s_mov_b32 s9, s3
	s_wait_alu 0xfffe
	v_dual_mov_b32 v1, s8 :: v_dual_mov_b32 v2, s9
	global_store_b64 v0, v[1:2], s[6:7] scope:SCOPE_SYS
.LBB0_138:                              ;   Parent Loop BB0_1 Depth=1
                                        ; =>  This Inner Loop Header: Depth=2
	global_load_b64 v[1:2], v0, s[4:5] scope:SCOPE_SYS
	s_wait_loadcnt 0x0
	v_cmp_ne_u64_e32 vcc_lo, s[8:9], v[1:2]
	s_cbranch_vccnz .LBB0_138
; %bb.139:                              ;   in Loop: Header=BB0_1 Depth=1
	s_add_co_i32 s8, s2, 0x45
	s_mov_b32 s9, s3
	s_wait_alu 0xfffe
	v_dual_mov_b32 v1, s8 :: v_dual_mov_b32 v2, s9
	global_store_b64 v0, v[1:2], s[6:7] scope:SCOPE_SYS
.LBB0_140:                              ;   Parent Loop BB0_1 Depth=1
                                        ; =>  This Inner Loop Header: Depth=2
	global_load_b64 v[1:2], v0, s[4:5] scope:SCOPE_SYS
	s_wait_loadcnt 0x0
	v_cmp_ne_u64_e32 vcc_lo, s[8:9], v[1:2]
	s_cbranch_vccnz .LBB0_140
; %bb.141:                              ;   in Loop: Header=BB0_1 Depth=1
	s_add_co_i32 s8, s2, 0x46
	s_mov_b32 s9, s3
	s_wait_alu 0xfffe
	v_dual_mov_b32 v1, s8 :: v_dual_mov_b32 v2, s9
	global_store_b64 v0, v[1:2], s[6:7] scope:SCOPE_SYS
.LBB0_142:                              ;   Parent Loop BB0_1 Depth=1
                                        ; =>  This Inner Loop Header: Depth=2
	global_load_b64 v[1:2], v0, s[4:5] scope:SCOPE_SYS
	s_wait_loadcnt 0x0
	v_cmp_ne_u64_e32 vcc_lo, s[8:9], v[1:2]
	s_cbranch_vccnz .LBB0_142
; %bb.143:                              ;   in Loop: Header=BB0_1 Depth=1
	s_add_co_i32 s8, s2, 0x47
	s_mov_b32 s9, s3
	s_wait_alu 0xfffe
	v_dual_mov_b32 v1, s8 :: v_dual_mov_b32 v2, s9
	global_store_b64 v0, v[1:2], s[6:7] scope:SCOPE_SYS
.LBB0_144:                              ;   Parent Loop BB0_1 Depth=1
                                        ; =>  This Inner Loop Header: Depth=2
	global_load_b64 v[1:2], v0, s[4:5] scope:SCOPE_SYS
	s_wait_loadcnt 0x0
	v_cmp_ne_u64_e32 vcc_lo, s[8:9], v[1:2]
	s_cbranch_vccnz .LBB0_144
; %bb.145:                              ;   in Loop: Header=BB0_1 Depth=1
	s_add_co_i32 s8, s2, 0x48
	s_mov_b32 s9, s3
	s_wait_alu 0xfffe
	v_dual_mov_b32 v1, s8 :: v_dual_mov_b32 v2, s9
	global_store_b64 v0, v[1:2], s[6:7] scope:SCOPE_SYS
.LBB0_146:                              ;   Parent Loop BB0_1 Depth=1
                                        ; =>  This Inner Loop Header: Depth=2
	global_load_b64 v[1:2], v0, s[4:5] scope:SCOPE_SYS
	s_wait_loadcnt 0x0
	v_cmp_ne_u64_e32 vcc_lo, s[8:9], v[1:2]
	s_cbranch_vccnz .LBB0_146
; %bb.147:                              ;   in Loop: Header=BB0_1 Depth=1
	s_add_co_i32 s8, s2, 0x49
	s_mov_b32 s9, s3
	s_wait_alu 0xfffe
	v_dual_mov_b32 v1, s8 :: v_dual_mov_b32 v2, s9
	global_store_b64 v0, v[1:2], s[6:7] scope:SCOPE_SYS
.LBB0_148:                              ;   Parent Loop BB0_1 Depth=1
                                        ; =>  This Inner Loop Header: Depth=2
	global_load_b64 v[1:2], v0, s[4:5] scope:SCOPE_SYS
	s_wait_loadcnt 0x0
	v_cmp_ne_u64_e32 vcc_lo, s[8:9], v[1:2]
	s_cbranch_vccnz .LBB0_148
; %bb.149:                              ;   in Loop: Header=BB0_1 Depth=1
	s_add_co_i32 s8, s2, 0x4a
	s_mov_b32 s9, s3
	s_wait_alu 0xfffe
	v_dual_mov_b32 v1, s8 :: v_dual_mov_b32 v2, s9
	global_store_b64 v0, v[1:2], s[6:7] scope:SCOPE_SYS
.LBB0_150:                              ;   Parent Loop BB0_1 Depth=1
                                        ; =>  This Inner Loop Header: Depth=2
	global_load_b64 v[1:2], v0, s[4:5] scope:SCOPE_SYS
	s_wait_loadcnt 0x0
	v_cmp_ne_u64_e32 vcc_lo, s[8:9], v[1:2]
	s_cbranch_vccnz .LBB0_150
; %bb.151:                              ;   in Loop: Header=BB0_1 Depth=1
	s_add_co_i32 s8, s2, 0x4b
	s_mov_b32 s9, s3
	s_wait_alu 0xfffe
	v_dual_mov_b32 v1, s8 :: v_dual_mov_b32 v2, s9
	global_store_b64 v0, v[1:2], s[6:7] scope:SCOPE_SYS
.LBB0_152:                              ;   Parent Loop BB0_1 Depth=1
                                        ; =>  This Inner Loop Header: Depth=2
	global_load_b64 v[1:2], v0, s[4:5] scope:SCOPE_SYS
	s_wait_loadcnt 0x0
	v_cmp_ne_u64_e32 vcc_lo, s[8:9], v[1:2]
	s_cbranch_vccnz .LBB0_152
; %bb.153:                              ;   in Loop: Header=BB0_1 Depth=1
	s_add_co_i32 s8, s2, 0x4c
	s_mov_b32 s9, s3
	s_wait_alu 0xfffe
	v_dual_mov_b32 v1, s8 :: v_dual_mov_b32 v2, s9
	global_store_b64 v0, v[1:2], s[6:7] scope:SCOPE_SYS
.LBB0_154:                              ;   Parent Loop BB0_1 Depth=1
                                        ; =>  This Inner Loop Header: Depth=2
	global_load_b64 v[1:2], v0, s[4:5] scope:SCOPE_SYS
	s_wait_loadcnt 0x0
	v_cmp_ne_u64_e32 vcc_lo, s[8:9], v[1:2]
	s_cbranch_vccnz .LBB0_154
; %bb.155:                              ;   in Loop: Header=BB0_1 Depth=1
	s_add_co_i32 s8, s2, 0x4d
	s_mov_b32 s9, s3
	s_wait_alu 0xfffe
	v_dual_mov_b32 v1, s8 :: v_dual_mov_b32 v2, s9
	global_store_b64 v0, v[1:2], s[6:7] scope:SCOPE_SYS
.LBB0_156:                              ;   Parent Loop BB0_1 Depth=1
                                        ; =>  This Inner Loop Header: Depth=2
	global_load_b64 v[1:2], v0, s[4:5] scope:SCOPE_SYS
	s_wait_loadcnt 0x0
	v_cmp_ne_u64_e32 vcc_lo, s[8:9], v[1:2]
	s_cbranch_vccnz .LBB0_156
; %bb.157:                              ;   in Loop: Header=BB0_1 Depth=1
	s_add_co_i32 s8, s2, 0x4e
	s_mov_b32 s9, s3
	s_wait_alu 0xfffe
	v_dual_mov_b32 v1, s8 :: v_dual_mov_b32 v2, s9
	global_store_b64 v0, v[1:2], s[6:7] scope:SCOPE_SYS
.LBB0_158:                              ;   Parent Loop BB0_1 Depth=1
                                        ; =>  This Inner Loop Header: Depth=2
	global_load_b64 v[1:2], v0, s[4:5] scope:SCOPE_SYS
	s_wait_loadcnt 0x0
	v_cmp_ne_u64_e32 vcc_lo, s[8:9], v[1:2]
	s_cbranch_vccnz .LBB0_158
; %bb.159:                              ;   in Loop: Header=BB0_1 Depth=1
	s_add_co_i32 s8, s2, 0x4f
	s_mov_b32 s9, s3
	s_wait_alu 0xfffe
	v_dual_mov_b32 v1, s8 :: v_dual_mov_b32 v2, s9
	global_store_b64 v0, v[1:2], s[6:7] scope:SCOPE_SYS
.LBB0_160:                              ;   Parent Loop BB0_1 Depth=1
                                        ; =>  This Inner Loop Header: Depth=2
	global_load_b64 v[1:2], v0, s[4:5] scope:SCOPE_SYS
	s_wait_loadcnt 0x0
	v_cmp_ne_u64_e32 vcc_lo, s[8:9], v[1:2]
	s_cbranch_vccnz .LBB0_160
; %bb.161:                              ;   in Loop: Header=BB0_1 Depth=1
	s_add_co_i32 s8, s2, 0x50
	s_mov_b32 s9, s3
	s_wait_alu 0xfffe
	v_dual_mov_b32 v1, s8 :: v_dual_mov_b32 v2, s9
	global_store_b64 v0, v[1:2], s[6:7] scope:SCOPE_SYS
.LBB0_162:                              ;   Parent Loop BB0_1 Depth=1
                                        ; =>  This Inner Loop Header: Depth=2
	global_load_b64 v[1:2], v0, s[4:5] scope:SCOPE_SYS
	s_wait_loadcnt 0x0
	v_cmp_ne_u64_e32 vcc_lo, s[8:9], v[1:2]
	s_cbranch_vccnz .LBB0_162
; %bb.163:                              ;   in Loop: Header=BB0_1 Depth=1
	s_add_co_i32 s8, s2, 0x51
	s_mov_b32 s9, s3
	s_wait_alu 0xfffe
	v_dual_mov_b32 v1, s8 :: v_dual_mov_b32 v2, s9
	global_store_b64 v0, v[1:2], s[6:7] scope:SCOPE_SYS
.LBB0_164:                              ;   Parent Loop BB0_1 Depth=1
                                        ; =>  This Inner Loop Header: Depth=2
	global_load_b64 v[1:2], v0, s[4:5] scope:SCOPE_SYS
	s_wait_loadcnt 0x0
	v_cmp_ne_u64_e32 vcc_lo, s[8:9], v[1:2]
	s_cbranch_vccnz .LBB0_164
; %bb.165:                              ;   in Loop: Header=BB0_1 Depth=1
	s_add_co_i32 s8, s2, 0x52
	s_mov_b32 s9, s3
	s_wait_alu 0xfffe
	v_dual_mov_b32 v1, s8 :: v_dual_mov_b32 v2, s9
	global_store_b64 v0, v[1:2], s[6:7] scope:SCOPE_SYS
.LBB0_166:                              ;   Parent Loop BB0_1 Depth=1
                                        ; =>  This Inner Loop Header: Depth=2
	global_load_b64 v[1:2], v0, s[4:5] scope:SCOPE_SYS
	s_wait_loadcnt 0x0
	v_cmp_ne_u64_e32 vcc_lo, s[8:9], v[1:2]
	s_cbranch_vccnz .LBB0_166
; %bb.167:                              ;   in Loop: Header=BB0_1 Depth=1
	s_add_co_i32 s8, s2, 0x53
	s_mov_b32 s9, s3
	s_wait_alu 0xfffe
	v_dual_mov_b32 v1, s8 :: v_dual_mov_b32 v2, s9
	global_store_b64 v0, v[1:2], s[6:7] scope:SCOPE_SYS
.LBB0_168:                              ;   Parent Loop BB0_1 Depth=1
                                        ; =>  This Inner Loop Header: Depth=2
	global_load_b64 v[1:2], v0, s[4:5] scope:SCOPE_SYS
	s_wait_loadcnt 0x0
	v_cmp_ne_u64_e32 vcc_lo, s[8:9], v[1:2]
	s_cbranch_vccnz .LBB0_168
; %bb.169:                              ;   in Loop: Header=BB0_1 Depth=1
	s_add_co_i32 s8, s2, 0x54
	s_mov_b32 s9, s3
	s_wait_alu 0xfffe
	v_dual_mov_b32 v1, s8 :: v_dual_mov_b32 v2, s9
	global_store_b64 v0, v[1:2], s[6:7] scope:SCOPE_SYS
.LBB0_170:                              ;   Parent Loop BB0_1 Depth=1
                                        ; =>  This Inner Loop Header: Depth=2
	global_load_b64 v[1:2], v0, s[4:5] scope:SCOPE_SYS
	s_wait_loadcnt 0x0
	v_cmp_ne_u64_e32 vcc_lo, s[8:9], v[1:2]
	s_cbranch_vccnz .LBB0_170
; %bb.171:                              ;   in Loop: Header=BB0_1 Depth=1
	s_add_co_i32 s8, s2, 0x55
	s_mov_b32 s9, s3
	s_wait_alu 0xfffe
	v_dual_mov_b32 v1, s8 :: v_dual_mov_b32 v2, s9
	global_store_b64 v0, v[1:2], s[6:7] scope:SCOPE_SYS
.LBB0_172:                              ;   Parent Loop BB0_1 Depth=1
                                        ; =>  This Inner Loop Header: Depth=2
	global_load_b64 v[1:2], v0, s[4:5] scope:SCOPE_SYS
	s_wait_loadcnt 0x0
	v_cmp_ne_u64_e32 vcc_lo, s[8:9], v[1:2]
	s_cbranch_vccnz .LBB0_172
; %bb.173:                              ;   in Loop: Header=BB0_1 Depth=1
	s_add_co_i32 s8, s2, 0x56
	s_mov_b32 s9, s3
	s_wait_alu 0xfffe
	v_dual_mov_b32 v1, s8 :: v_dual_mov_b32 v2, s9
	global_store_b64 v0, v[1:2], s[6:7] scope:SCOPE_SYS
.LBB0_174:                              ;   Parent Loop BB0_1 Depth=1
                                        ; =>  This Inner Loop Header: Depth=2
	global_load_b64 v[1:2], v0, s[4:5] scope:SCOPE_SYS
	s_wait_loadcnt 0x0
	v_cmp_ne_u64_e32 vcc_lo, s[8:9], v[1:2]
	s_cbranch_vccnz .LBB0_174
; %bb.175:                              ;   in Loop: Header=BB0_1 Depth=1
	s_add_co_i32 s8, s2, 0x57
	s_mov_b32 s9, s3
	s_wait_alu 0xfffe
	v_dual_mov_b32 v1, s8 :: v_dual_mov_b32 v2, s9
	global_store_b64 v0, v[1:2], s[6:7] scope:SCOPE_SYS
.LBB0_176:                              ;   Parent Loop BB0_1 Depth=1
                                        ; =>  This Inner Loop Header: Depth=2
	global_load_b64 v[1:2], v0, s[4:5] scope:SCOPE_SYS
	s_wait_loadcnt 0x0
	v_cmp_ne_u64_e32 vcc_lo, s[8:9], v[1:2]
	s_cbranch_vccnz .LBB0_176
; %bb.177:                              ;   in Loop: Header=BB0_1 Depth=1
	s_add_co_i32 s8, s2, 0x58
	s_mov_b32 s9, s3
	s_wait_alu 0xfffe
	v_dual_mov_b32 v1, s8 :: v_dual_mov_b32 v2, s9
	global_store_b64 v0, v[1:2], s[6:7] scope:SCOPE_SYS
.LBB0_178:                              ;   Parent Loop BB0_1 Depth=1
                                        ; =>  This Inner Loop Header: Depth=2
	global_load_b64 v[1:2], v0, s[4:5] scope:SCOPE_SYS
	s_wait_loadcnt 0x0
	v_cmp_ne_u64_e32 vcc_lo, s[8:9], v[1:2]
	s_cbranch_vccnz .LBB0_178
; %bb.179:                              ;   in Loop: Header=BB0_1 Depth=1
	s_add_co_i32 s8, s2, 0x59
	s_mov_b32 s9, s3
	s_wait_alu 0xfffe
	v_dual_mov_b32 v1, s8 :: v_dual_mov_b32 v2, s9
	global_store_b64 v0, v[1:2], s[6:7] scope:SCOPE_SYS
.LBB0_180:                              ;   Parent Loop BB0_1 Depth=1
                                        ; =>  This Inner Loop Header: Depth=2
	global_load_b64 v[1:2], v0, s[4:5] scope:SCOPE_SYS
	s_wait_loadcnt 0x0
	v_cmp_ne_u64_e32 vcc_lo, s[8:9], v[1:2]
	s_cbranch_vccnz .LBB0_180
; %bb.181:                              ;   in Loop: Header=BB0_1 Depth=1
	s_add_co_i32 s8, s2, 0x5a
	s_mov_b32 s9, s3
	s_wait_alu 0xfffe
	v_dual_mov_b32 v1, s8 :: v_dual_mov_b32 v2, s9
	global_store_b64 v0, v[1:2], s[6:7] scope:SCOPE_SYS
.LBB0_182:                              ;   Parent Loop BB0_1 Depth=1
                                        ; =>  This Inner Loop Header: Depth=2
	global_load_b64 v[1:2], v0, s[4:5] scope:SCOPE_SYS
	s_wait_loadcnt 0x0
	v_cmp_ne_u64_e32 vcc_lo, s[8:9], v[1:2]
	s_cbranch_vccnz .LBB0_182
; %bb.183:                              ;   in Loop: Header=BB0_1 Depth=1
	s_add_co_i32 s8, s2, 0x5b
	s_mov_b32 s9, s3
	s_wait_alu 0xfffe
	v_dual_mov_b32 v1, s8 :: v_dual_mov_b32 v2, s9
	global_store_b64 v0, v[1:2], s[6:7] scope:SCOPE_SYS
.LBB0_184:                              ;   Parent Loop BB0_1 Depth=1
                                        ; =>  This Inner Loop Header: Depth=2
	global_load_b64 v[1:2], v0, s[4:5] scope:SCOPE_SYS
	s_wait_loadcnt 0x0
	v_cmp_ne_u64_e32 vcc_lo, s[8:9], v[1:2]
	s_cbranch_vccnz .LBB0_184
; %bb.185:                              ;   in Loop: Header=BB0_1 Depth=1
	s_add_co_i32 s8, s2, 0x5c
	s_mov_b32 s9, s3
	s_wait_alu 0xfffe
	v_dual_mov_b32 v1, s8 :: v_dual_mov_b32 v2, s9
	global_store_b64 v0, v[1:2], s[6:7] scope:SCOPE_SYS
.LBB0_186:                              ;   Parent Loop BB0_1 Depth=1
                                        ; =>  This Inner Loop Header: Depth=2
	global_load_b64 v[1:2], v0, s[4:5] scope:SCOPE_SYS
	s_wait_loadcnt 0x0
	v_cmp_ne_u64_e32 vcc_lo, s[8:9], v[1:2]
	s_cbranch_vccnz .LBB0_186
; %bb.187:                              ;   in Loop: Header=BB0_1 Depth=1
	s_add_co_i32 s8, s2, 0x5d
	s_mov_b32 s9, s3
	s_wait_alu 0xfffe
	v_dual_mov_b32 v1, s8 :: v_dual_mov_b32 v2, s9
	global_store_b64 v0, v[1:2], s[6:7] scope:SCOPE_SYS
.LBB0_188:                              ;   Parent Loop BB0_1 Depth=1
                                        ; =>  This Inner Loop Header: Depth=2
	global_load_b64 v[1:2], v0, s[4:5] scope:SCOPE_SYS
	s_wait_loadcnt 0x0
	v_cmp_ne_u64_e32 vcc_lo, s[8:9], v[1:2]
	s_cbranch_vccnz .LBB0_188
; %bb.189:                              ;   in Loop: Header=BB0_1 Depth=1
	s_add_co_i32 s8, s2, 0x5e
	s_mov_b32 s9, s3
	s_wait_alu 0xfffe
	v_dual_mov_b32 v1, s8 :: v_dual_mov_b32 v2, s9
	global_store_b64 v0, v[1:2], s[6:7] scope:SCOPE_SYS
.LBB0_190:                              ;   Parent Loop BB0_1 Depth=1
                                        ; =>  This Inner Loop Header: Depth=2
	global_load_b64 v[1:2], v0, s[4:5] scope:SCOPE_SYS
	s_wait_loadcnt 0x0
	v_cmp_ne_u64_e32 vcc_lo, s[8:9], v[1:2]
	s_cbranch_vccnz .LBB0_190
; %bb.191:                              ;   in Loop: Header=BB0_1 Depth=1
	s_add_co_i32 s8, s2, 0x5f
	s_mov_b32 s9, s3
	s_wait_alu 0xfffe
	v_dual_mov_b32 v1, s8 :: v_dual_mov_b32 v2, s9
	global_store_b64 v0, v[1:2], s[6:7] scope:SCOPE_SYS
.LBB0_192:                              ;   Parent Loop BB0_1 Depth=1
                                        ; =>  This Inner Loop Header: Depth=2
	global_load_b64 v[1:2], v0, s[4:5] scope:SCOPE_SYS
	s_wait_loadcnt 0x0
	v_cmp_ne_u64_e32 vcc_lo, s[8:9], v[1:2]
	s_cbranch_vccnz .LBB0_192
; %bb.193:                              ;   in Loop: Header=BB0_1 Depth=1
	s_add_co_i32 s8, s2, 0x60
	s_mov_b32 s9, s3
	s_wait_alu 0xfffe
	v_dual_mov_b32 v1, s8 :: v_dual_mov_b32 v2, s9
	global_store_b64 v0, v[1:2], s[6:7] scope:SCOPE_SYS
.LBB0_194:                              ;   Parent Loop BB0_1 Depth=1
                                        ; =>  This Inner Loop Header: Depth=2
	global_load_b64 v[1:2], v0, s[4:5] scope:SCOPE_SYS
	s_wait_loadcnt 0x0
	v_cmp_ne_u64_e32 vcc_lo, s[8:9], v[1:2]
	s_cbranch_vccnz .LBB0_194
; %bb.195:                              ;   in Loop: Header=BB0_1 Depth=1
	s_add_co_i32 s8, s2, 0x61
	s_mov_b32 s9, s3
	s_wait_alu 0xfffe
	v_dual_mov_b32 v1, s8 :: v_dual_mov_b32 v2, s9
	global_store_b64 v0, v[1:2], s[6:7] scope:SCOPE_SYS
.LBB0_196:                              ;   Parent Loop BB0_1 Depth=1
                                        ; =>  This Inner Loop Header: Depth=2
	global_load_b64 v[1:2], v0, s[4:5] scope:SCOPE_SYS
	s_wait_loadcnt 0x0
	v_cmp_ne_u64_e32 vcc_lo, s[8:9], v[1:2]
	s_cbranch_vccnz .LBB0_196
; %bb.197:                              ;   in Loop: Header=BB0_1 Depth=1
	s_add_co_i32 s8, s2, 0x62
	s_mov_b32 s9, s3
	s_wait_alu 0xfffe
	v_dual_mov_b32 v1, s8 :: v_dual_mov_b32 v2, s9
	global_store_b64 v0, v[1:2], s[6:7] scope:SCOPE_SYS
.LBB0_198:                              ;   Parent Loop BB0_1 Depth=1
                                        ; =>  This Inner Loop Header: Depth=2
	global_load_b64 v[1:2], v0, s[4:5] scope:SCOPE_SYS
	s_wait_loadcnt 0x0
	v_cmp_ne_u64_e32 vcc_lo, s[8:9], v[1:2]
	s_cbranch_vccnz .LBB0_198
; %bb.199:                              ;   in Loop: Header=BB0_1 Depth=1
	s_add_co_i32 s8, s2, 0x63
	s_mov_b32 s9, s3
	s_wait_alu 0xfffe
	v_dual_mov_b32 v1, s8 :: v_dual_mov_b32 v2, s9
	global_store_b64 v0, v[1:2], s[6:7] scope:SCOPE_SYS
.LBB0_200:                              ;   Parent Loop BB0_1 Depth=1
                                        ; =>  This Inner Loop Header: Depth=2
	global_load_b64 v[1:2], v0, s[4:5] scope:SCOPE_SYS
	s_wait_loadcnt 0x0
	v_cmp_ne_u64_e32 vcc_lo, s[8:9], v[1:2]
	s_cbranch_vccnz .LBB0_200
; %bb.201:                              ;   in Loop: Header=BB0_1 Depth=1
	s_add_co_i32 s8, s2, 0x64
	s_mov_b32 s9, s3
	s_wait_alu 0xfffe
	v_dual_mov_b32 v1, s8 :: v_dual_mov_b32 v2, s9
	global_store_b64 v0, v[1:2], s[6:7] scope:SCOPE_SYS
.LBB0_202:                              ;   Parent Loop BB0_1 Depth=1
                                        ; =>  This Inner Loop Header: Depth=2
	global_load_b64 v[1:2], v0, s[4:5] scope:SCOPE_SYS
	s_wait_loadcnt 0x0
	v_cmp_ne_u64_e32 vcc_lo, s[8:9], v[1:2]
	s_cbranch_vccnz .LBB0_202
; %bb.203:                              ;   in Loop: Header=BB0_1 Depth=1
	s_add_co_i32 s8, s2, 0x65
	s_mov_b32 s9, s3
	s_wait_alu 0xfffe
	v_dual_mov_b32 v1, s8 :: v_dual_mov_b32 v2, s9
	global_store_b64 v0, v[1:2], s[6:7] scope:SCOPE_SYS
.LBB0_204:                              ;   Parent Loop BB0_1 Depth=1
                                        ; =>  This Inner Loop Header: Depth=2
	global_load_b64 v[1:2], v0, s[4:5] scope:SCOPE_SYS
	s_wait_loadcnt 0x0
	v_cmp_ne_u64_e32 vcc_lo, s[8:9], v[1:2]
	s_cbranch_vccnz .LBB0_204
; %bb.205:                              ;   in Loop: Header=BB0_1 Depth=1
	s_add_co_i32 s8, s2, 0x66
	s_mov_b32 s9, s3
	s_wait_alu 0xfffe
	v_dual_mov_b32 v1, s8 :: v_dual_mov_b32 v2, s9
	global_store_b64 v0, v[1:2], s[6:7] scope:SCOPE_SYS
.LBB0_206:                              ;   Parent Loop BB0_1 Depth=1
                                        ; =>  This Inner Loop Header: Depth=2
	global_load_b64 v[1:2], v0, s[4:5] scope:SCOPE_SYS
	s_wait_loadcnt 0x0
	v_cmp_ne_u64_e32 vcc_lo, s[8:9], v[1:2]
	s_cbranch_vccnz .LBB0_206
; %bb.207:                              ;   in Loop: Header=BB0_1 Depth=1
	s_add_co_i32 s8, s2, 0x67
	s_mov_b32 s9, s3
	s_wait_alu 0xfffe
	v_dual_mov_b32 v1, s8 :: v_dual_mov_b32 v2, s9
	global_store_b64 v0, v[1:2], s[6:7] scope:SCOPE_SYS
.LBB0_208:                              ;   Parent Loop BB0_1 Depth=1
                                        ; =>  This Inner Loop Header: Depth=2
	global_load_b64 v[1:2], v0, s[4:5] scope:SCOPE_SYS
	s_wait_loadcnt 0x0
	v_cmp_ne_u64_e32 vcc_lo, s[8:9], v[1:2]
	s_cbranch_vccnz .LBB0_208
; %bb.209:                              ;   in Loop: Header=BB0_1 Depth=1
	s_add_co_i32 s8, s2, 0x68
	s_mov_b32 s9, s3
	s_wait_alu 0xfffe
	v_dual_mov_b32 v1, s8 :: v_dual_mov_b32 v2, s9
	global_store_b64 v0, v[1:2], s[6:7] scope:SCOPE_SYS
.LBB0_210:                              ;   Parent Loop BB0_1 Depth=1
                                        ; =>  This Inner Loop Header: Depth=2
	global_load_b64 v[1:2], v0, s[4:5] scope:SCOPE_SYS
	s_wait_loadcnt 0x0
	v_cmp_ne_u64_e32 vcc_lo, s[8:9], v[1:2]
	s_cbranch_vccnz .LBB0_210
; %bb.211:                              ;   in Loop: Header=BB0_1 Depth=1
	s_add_co_i32 s8, s2, 0x69
	s_mov_b32 s9, s3
	s_wait_alu 0xfffe
	v_dual_mov_b32 v1, s8 :: v_dual_mov_b32 v2, s9
	global_store_b64 v0, v[1:2], s[6:7] scope:SCOPE_SYS
.LBB0_212:                              ;   Parent Loop BB0_1 Depth=1
                                        ; =>  This Inner Loop Header: Depth=2
	global_load_b64 v[1:2], v0, s[4:5] scope:SCOPE_SYS
	s_wait_loadcnt 0x0
	v_cmp_ne_u64_e32 vcc_lo, s[8:9], v[1:2]
	s_cbranch_vccnz .LBB0_212
; %bb.213:                              ;   in Loop: Header=BB0_1 Depth=1
	s_add_co_i32 s8, s2, 0x6a
	s_mov_b32 s9, s3
	s_wait_alu 0xfffe
	v_dual_mov_b32 v1, s8 :: v_dual_mov_b32 v2, s9
	global_store_b64 v0, v[1:2], s[6:7] scope:SCOPE_SYS
.LBB0_214:                              ;   Parent Loop BB0_1 Depth=1
                                        ; =>  This Inner Loop Header: Depth=2
	global_load_b64 v[1:2], v0, s[4:5] scope:SCOPE_SYS
	s_wait_loadcnt 0x0
	v_cmp_ne_u64_e32 vcc_lo, s[8:9], v[1:2]
	s_cbranch_vccnz .LBB0_214
; %bb.215:                              ;   in Loop: Header=BB0_1 Depth=1
	s_add_co_i32 s8, s2, 0x6b
	s_mov_b32 s9, s3
	s_wait_alu 0xfffe
	v_dual_mov_b32 v1, s8 :: v_dual_mov_b32 v2, s9
	global_store_b64 v0, v[1:2], s[6:7] scope:SCOPE_SYS
.LBB0_216:                              ;   Parent Loop BB0_1 Depth=1
                                        ; =>  This Inner Loop Header: Depth=2
	global_load_b64 v[1:2], v0, s[4:5] scope:SCOPE_SYS
	s_wait_loadcnt 0x0
	v_cmp_ne_u64_e32 vcc_lo, s[8:9], v[1:2]
	s_cbranch_vccnz .LBB0_216
; %bb.217:                              ;   in Loop: Header=BB0_1 Depth=1
	s_add_co_i32 s8, s2, 0x6c
	s_mov_b32 s9, s3
	s_wait_alu 0xfffe
	v_dual_mov_b32 v1, s8 :: v_dual_mov_b32 v2, s9
	global_store_b64 v0, v[1:2], s[6:7] scope:SCOPE_SYS
.LBB0_218:                              ;   Parent Loop BB0_1 Depth=1
                                        ; =>  This Inner Loop Header: Depth=2
	global_load_b64 v[1:2], v0, s[4:5] scope:SCOPE_SYS
	s_wait_loadcnt 0x0
	v_cmp_ne_u64_e32 vcc_lo, s[8:9], v[1:2]
	s_cbranch_vccnz .LBB0_218
; %bb.219:                              ;   in Loop: Header=BB0_1 Depth=1
	s_add_co_i32 s8, s2, 0x6d
	s_mov_b32 s9, s3
	s_wait_alu 0xfffe
	v_dual_mov_b32 v1, s8 :: v_dual_mov_b32 v2, s9
	global_store_b64 v0, v[1:2], s[6:7] scope:SCOPE_SYS
.LBB0_220:                              ;   Parent Loop BB0_1 Depth=1
                                        ; =>  This Inner Loop Header: Depth=2
	global_load_b64 v[1:2], v0, s[4:5] scope:SCOPE_SYS
	s_wait_loadcnt 0x0
	v_cmp_ne_u64_e32 vcc_lo, s[8:9], v[1:2]
	s_cbranch_vccnz .LBB0_220
; %bb.221:                              ;   in Loop: Header=BB0_1 Depth=1
	s_add_co_i32 s8, s2, 0x6e
	s_mov_b32 s9, s3
	s_wait_alu 0xfffe
	v_dual_mov_b32 v1, s8 :: v_dual_mov_b32 v2, s9
	global_store_b64 v0, v[1:2], s[6:7] scope:SCOPE_SYS
.LBB0_222:                              ;   Parent Loop BB0_1 Depth=1
                                        ; =>  This Inner Loop Header: Depth=2
	global_load_b64 v[1:2], v0, s[4:5] scope:SCOPE_SYS
	s_wait_loadcnt 0x0
	v_cmp_ne_u64_e32 vcc_lo, s[8:9], v[1:2]
	s_cbranch_vccnz .LBB0_222
; %bb.223:                              ;   in Loop: Header=BB0_1 Depth=1
	s_add_co_i32 s8, s2, 0x6f
	s_mov_b32 s9, s3
	s_wait_alu 0xfffe
	v_dual_mov_b32 v1, s8 :: v_dual_mov_b32 v2, s9
	global_store_b64 v0, v[1:2], s[6:7] scope:SCOPE_SYS
.LBB0_224:                              ;   Parent Loop BB0_1 Depth=1
                                        ; =>  This Inner Loop Header: Depth=2
	global_load_b64 v[1:2], v0, s[4:5] scope:SCOPE_SYS
	s_wait_loadcnt 0x0
	v_cmp_ne_u64_e32 vcc_lo, s[8:9], v[1:2]
	s_cbranch_vccnz .LBB0_224
; %bb.225:                              ;   in Loop: Header=BB0_1 Depth=1
	s_add_co_i32 s8, s2, 0x70
	s_mov_b32 s9, s3
	s_wait_alu 0xfffe
	v_dual_mov_b32 v1, s8 :: v_dual_mov_b32 v2, s9
	global_store_b64 v0, v[1:2], s[6:7] scope:SCOPE_SYS
.LBB0_226:                              ;   Parent Loop BB0_1 Depth=1
                                        ; =>  This Inner Loop Header: Depth=2
	global_load_b64 v[1:2], v0, s[4:5] scope:SCOPE_SYS
	s_wait_loadcnt 0x0
	v_cmp_ne_u64_e32 vcc_lo, s[8:9], v[1:2]
	s_cbranch_vccnz .LBB0_226
; %bb.227:                              ;   in Loop: Header=BB0_1 Depth=1
	s_add_co_i32 s8, s2, 0x71
	s_mov_b32 s9, s3
	s_wait_alu 0xfffe
	v_dual_mov_b32 v1, s8 :: v_dual_mov_b32 v2, s9
	global_store_b64 v0, v[1:2], s[6:7] scope:SCOPE_SYS
.LBB0_228:                              ;   Parent Loop BB0_1 Depth=1
                                        ; =>  This Inner Loop Header: Depth=2
	global_load_b64 v[1:2], v0, s[4:5] scope:SCOPE_SYS
	s_wait_loadcnt 0x0
	v_cmp_ne_u64_e32 vcc_lo, s[8:9], v[1:2]
	s_cbranch_vccnz .LBB0_228
; %bb.229:                              ;   in Loop: Header=BB0_1 Depth=1
	s_add_co_i32 s8, s2, 0x72
	s_mov_b32 s9, s3
	s_wait_alu 0xfffe
	v_dual_mov_b32 v1, s8 :: v_dual_mov_b32 v2, s9
	global_store_b64 v0, v[1:2], s[6:7] scope:SCOPE_SYS
.LBB0_230:                              ;   Parent Loop BB0_1 Depth=1
                                        ; =>  This Inner Loop Header: Depth=2
	global_load_b64 v[1:2], v0, s[4:5] scope:SCOPE_SYS
	s_wait_loadcnt 0x0
	v_cmp_ne_u64_e32 vcc_lo, s[8:9], v[1:2]
	s_cbranch_vccnz .LBB0_230
; %bb.231:                              ;   in Loop: Header=BB0_1 Depth=1
	s_add_co_i32 s8, s2, 0x73
	s_mov_b32 s9, s3
	s_wait_alu 0xfffe
	v_dual_mov_b32 v1, s8 :: v_dual_mov_b32 v2, s9
	global_store_b64 v0, v[1:2], s[6:7] scope:SCOPE_SYS
.LBB0_232:                              ;   Parent Loop BB0_1 Depth=1
                                        ; =>  This Inner Loop Header: Depth=2
	global_load_b64 v[1:2], v0, s[4:5] scope:SCOPE_SYS
	s_wait_loadcnt 0x0
	v_cmp_ne_u64_e32 vcc_lo, s[8:9], v[1:2]
	s_cbranch_vccnz .LBB0_232
; %bb.233:                              ;   in Loop: Header=BB0_1 Depth=1
	s_add_co_i32 s8, s2, 0x74
	s_mov_b32 s9, s3
	s_wait_alu 0xfffe
	v_dual_mov_b32 v1, s8 :: v_dual_mov_b32 v2, s9
	global_store_b64 v0, v[1:2], s[6:7] scope:SCOPE_SYS
.LBB0_234:                              ;   Parent Loop BB0_1 Depth=1
                                        ; =>  This Inner Loop Header: Depth=2
	global_load_b64 v[1:2], v0, s[4:5] scope:SCOPE_SYS
	s_wait_loadcnt 0x0
	v_cmp_ne_u64_e32 vcc_lo, s[8:9], v[1:2]
	s_cbranch_vccnz .LBB0_234
; %bb.235:                              ;   in Loop: Header=BB0_1 Depth=1
	s_add_co_i32 s8, s2, 0x75
	s_mov_b32 s9, s3
	s_wait_alu 0xfffe
	v_dual_mov_b32 v1, s8 :: v_dual_mov_b32 v2, s9
	global_store_b64 v0, v[1:2], s[6:7] scope:SCOPE_SYS
.LBB0_236:                              ;   Parent Loop BB0_1 Depth=1
                                        ; =>  This Inner Loop Header: Depth=2
	global_load_b64 v[1:2], v0, s[4:5] scope:SCOPE_SYS
	s_wait_loadcnt 0x0
	v_cmp_ne_u64_e32 vcc_lo, s[8:9], v[1:2]
	s_cbranch_vccnz .LBB0_236
; %bb.237:                              ;   in Loop: Header=BB0_1 Depth=1
	s_add_co_i32 s8, s2, 0x76
	s_mov_b32 s9, s3
	s_wait_alu 0xfffe
	v_dual_mov_b32 v1, s8 :: v_dual_mov_b32 v2, s9
	global_store_b64 v0, v[1:2], s[6:7] scope:SCOPE_SYS
.LBB0_238:                              ;   Parent Loop BB0_1 Depth=1
                                        ; =>  This Inner Loop Header: Depth=2
	global_load_b64 v[1:2], v0, s[4:5] scope:SCOPE_SYS
	s_wait_loadcnt 0x0
	v_cmp_ne_u64_e32 vcc_lo, s[8:9], v[1:2]
	s_cbranch_vccnz .LBB0_238
; %bb.239:                              ;   in Loop: Header=BB0_1 Depth=1
	s_add_co_i32 s8, s2, 0x77
	s_mov_b32 s9, s3
	s_wait_alu 0xfffe
	v_dual_mov_b32 v1, s8 :: v_dual_mov_b32 v2, s9
	global_store_b64 v0, v[1:2], s[6:7] scope:SCOPE_SYS
.LBB0_240:                              ;   Parent Loop BB0_1 Depth=1
                                        ; =>  This Inner Loop Header: Depth=2
	global_load_b64 v[1:2], v0, s[4:5] scope:SCOPE_SYS
	s_wait_loadcnt 0x0
	v_cmp_ne_u64_e32 vcc_lo, s[8:9], v[1:2]
	s_cbranch_vccnz .LBB0_240
; %bb.241:                              ;   in Loop: Header=BB0_1 Depth=1
	s_add_co_i32 s8, s2, 0x78
	s_mov_b32 s9, s3
	s_wait_alu 0xfffe
	v_dual_mov_b32 v1, s8 :: v_dual_mov_b32 v2, s9
	global_store_b64 v0, v[1:2], s[6:7] scope:SCOPE_SYS
.LBB0_242:                              ;   Parent Loop BB0_1 Depth=1
                                        ; =>  This Inner Loop Header: Depth=2
	global_load_b64 v[1:2], v0, s[4:5] scope:SCOPE_SYS
	s_wait_loadcnt 0x0
	v_cmp_ne_u64_e32 vcc_lo, s[8:9], v[1:2]
	s_cbranch_vccnz .LBB0_242
; %bb.243:                              ;   in Loop: Header=BB0_1 Depth=1
	s_add_co_i32 s8, s2, 0x79
	s_mov_b32 s9, s3
	s_wait_alu 0xfffe
	v_dual_mov_b32 v1, s8 :: v_dual_mov_b32 v2, s9
	global_store_b64 v0, v[1:2], s[6:7] scope:SCOPE_SYS
.LBB0_244:                              ;   Parent Loop BB0_1 Depth=1
                                        ; =>  This Inner Loop Header: Depth=2
	global_load_b64 v[1:2], v0, s[4:5] scope:SCOPE_SYS
	s_wait_loadcnt 0x0
	v_cmp_ne_u64_e32 vcc_lo, s[8:9], v[1:2]
	s_cbranch_vccnz .LBB0_244
; %bb.245:                              ;   in Loop: Header=BB0_1 Depth=1
	s_add_co_i32 s8, s2, 0x7a
	s_mov_b32 s9, s3
	s_wait_alu 0xfffe
	v_dual_mov_b32 v1, s8 :: v_dual_mov_b32 v2, s9
	global_store_b64 v0, v[1:2], s[6:7] scope:SCOPE_SYS
.LBB0_246:                              ;   Parent Loop BB0_1 Depth=1
                                        ; =>  This Inner Loop Header: Depth=2
	global_load_b64 v[1:2], v0, s[4:5] scope:SCOPE_SYS
	s_wait_loadcnt 0x0
	v_cmp_ne_u64_e32 vcc_lo, s[8:9], v[1:2]
	s_cbranch_vccnz .LBB0_246
; %bb.247:                              ;   in Loop: Header=BB0_1 Depth=1
	s_add_co_i32 s8, s2, 0x7b
	s_mov_b32 s9, s3
	s_wait_alu 0xfffe
	v_dual_mov_b32 v1, s8 :: v_dual_mov_b32 v2, s9
	global_store_b64 v0, v[1:2], s[6:7] scope:SCOPE_SYS
.LBB0_248:                              ;   Parent Loop BB0_1 Depth=1
                                        ; =>  This Inner Loop Header: Depth=2
	global_load_b64 v[1:2], v0, s[4:5] scope:SCOPE_SYS
	s_wait_loadcnt 0x0
	v_cmp_ne_u64_e32 vcc_lo, s[8:9], v[1:2]
	s_cbranch_vccnz .LBB0_248
; %bb.249:                              ;   in Loop: Header=BB0_1 Depth=1
	s_add_co_i32 s8, s2, 0x7c
	s_mov_b32 s9, s3
	s_wait_alu 0xfffe
	v_dual_mov_b32 v1, s8 :: v_dual_mov_b32 v2, s9
	global_store_b64 v0, v[1:2], s[6:7] scope:SCOPE_SYS
.LBB0_250:                              ;   Parent Loop BB0_1 Depth=1
                                        ; =>  This Inner Loop Header: Depth=2
	global_load_b64 v[1:2], v0, s[4:5] scope:SCOPE_SYS
	s_wait_loadcnt 0x0
	v_cmp_ne_u64_e32 vcc_lo, s[8:9], v[1:2]
	s_cbranch_vccnz .LBB0_250
; %bb.251:                              ;   in Loop: Header=BB0_1 Depth=1
	s_add_co_i32 s8, s2, 0x7d
	s_mov_b32 s9, s3
	s_wait_alu 0xfffe
	v_dual_mov_b32 v1, s8 :: v_dual_mov_b32 v2, s9
	global_store_b64 v0, v[1:2], s[6:7] scope:SCOPE_SYS
.LBB0_252:                              ;   Parent Loop BB0_1 Depth=1
                                        ; =>  This Inner Loop Header: Depth=2
	global_load_b64 v[1:2], v0, s[4:5] scope:SCOPE_SYS
	s_wait_loadcnt 0x0
	v_cmp_ne_u64_e32 vcc_lo, s[8:9], v[1:2]
	s_cbranch_vccnz .LBB0_252
; %bb.253:                              ;   in Loop: Header=BB0_1 Depth=1
	s_add_co_i32 s8, s2, 0x7e
	s_mov_b32 s9, s3
	s_wait_alu 0xfffe
	v_dual_mov_b32 v1, s8 :: v_dual_mov_b32 v2, s9
	global_store_b64 v0, v[1:2], s[6:7] scope:SCOPE_SYS
.LBB0_254:                              ;   Parent Loop BB0_1 Depth=1
                                        ; =>  This Inner Loop Header: Depth=2
	global_load_b64 v[1:2], v0, s[4:5] scope:SCOPE_SYS
	s_wait_loadcnt 0x0
	v_cmp_ne_u64_e32 vcc_lo, s[8:9], v[1:2]
	s_cbranch_vccnz .LBB0_254
; %bb.255:                              ;   in Loop: Header=BB0_1 Depth=1
	s_add_co_i32 s8, s2, 0x7f
	s_mov_b32 s9, s3
	s_wait_alu 0xfffe
	v_dual_mov_b32 v1, s8 :: v_dual_mov_b32 v2, s9
	global_store_b64 v0, v[1:2], s[6:7] scope:SCOPE_SYS
.LBB0_256:                              ;   Parent Loop BB0_1 Depth=1
                                        ; =>  This Inner Loop Header: Depth=2
	global_load_b64 v[1:2], v0, s[4:5] scope:SCOPE_SYS
	s_wait_loadcnt 0x0
	v_cmp_ne_u64_e32 vcc_lo, s[8:9], v[1:2]
	s_cbranch_vccnz .LBB0_256
; %bb.257:                              ;   in Loop: Header=BB0_1 Depth=1
	s_add_co_i32 s8, s2, 0x80
	s_mov_b32 s9, s3
	s_wait_alu 0xfffe
	v_dual_mov_b32 v1, s8 :: v_dual_mov_b32 v2, s9
	global_store_b64 v0, v[1:2], s[6:7] scope:SCOPE_SYS
.LBB0_258:                              ;   Parent Loop BB0_1 Depth=1
                                        ; =>  This Inner Loop Header: Depth=2
	global_load_b64 v[1:2], v0, s[4:5] scope:SCOPE_SYS
	s_wait_loadcnt 0x0
	v_cmp_ne_u64_e32 vcc_lo, s[8:9], v[1:2]
	s_cbranch_vccnz .LBB0_258
; %bb.259:                              ;   in Loop: Header=BB0_1 Depth=1
	s_add_co_i32 s8, s2, 0x81
	s_mov_b32 s9, s3
	s_wait_alu 0xfffe
	v_dual_mov_b32 v1, s8 :: v_dual_mov_b32 v2, s9
	global_store_b64 v0, v[1:2], s[6:7] scope:SCOPE_SYS
.LBB0_260:                              ;   Parent Loop BB0_1 Depth=1
                                        ; =>  This Inner Loop Header: Depth=2
	global_load_b64 v[1:2], v0, s[4:5] scope:SCOPE_SYS
	s_wait_loadcnt 0x0
	v_cmp_ne_u64_e32 vcc_lo, s[8:9], v[1:2]
	s_cbranch_vccnz .LBB0_260
; %bb.261:                              ;   in Loop: Header=BB0_1 Depth=1
	s_add_co_i32 s8, s2, 0x82
	s_mov_b32 s9, s3
	s_wait_alu 0xfffe
	v_dual_mov_b32 v1, s8 :: v_dual_mov_b32 v2, s9
	global_store_b64 v0, v[1:2], s[6:7] scope:SCOPE_SYS
.LBB0_262:                              ;   Parent Loop BB0_1 Depth=1
                                        ; =>  This Inner Loop Header: Depth=2
	global_load_b64 v[1:2], v0, s[4:5] scope:SCOPE_SYS
	s_wait_loadcnt 0x0
	v_cmp_ne_u64_e32 vcc_lo, s[8:9], v[1:2]
	s_cbranch_vccnz .LBB0_262
; %bb.263:                              ;   in Loop: Header=BB0_1 Depth=1
	s_add_co_i32 s8, s2, 0x83
	s_mov_b32 s9, s3
	s_wait_alu 0xfffe
	v_dual_mov_b32 v1, s8 :: v_dual_mov_b32 v2, s9
	global_store_b64 v0, v[1:2], s[6:7] scope:SCOPE_SYS
.LBB0_264:                              ;   Parent Loop BB0_1 Depth=1
                                        ; =>  This Inner Loop Header: Depth=2
	global_load_b64 v[1:2], v0, s[4:5] scope:SCOPE_SYS
	s_wait_loadcnt 0x0
	v_cmp_ne_u64_e32 vcc_lo, s[8:9], v[1:2]
	s_cbranch_vccnz .LBB0_264
; %bb.265:                              ;   in Loop: Header=BB0_1 Depth=1
	s_add_co_i32 s8, s2, 0x84
	s_mov_b32 s9, s3
	s_wait_alu 0xfffe
	v_dual_mov_b32 v1, s8 :: v_dual_mov_b32 v2, s9
	global_store_b64 v0, v[1:2], s[6:7] scope:SCOPE_SYS
.LBB0_266:                              ;   Parent Loop BB0_1 Depth=1
                                        ; =>  This Inner Loop Header: Depth=2
	global_load_b64 v[1:2], v0, s[4:5] scope:SCOPE_SYS
	s_wait_loadcnt 0x0
	v_cmp_ne_u64_e32 vcc_lo, s[8:9], v[1:2]
	s_cbranch_vccnz .LBB0_266
; %bb.267:                              ;   in Loop: Header=BB0_1 Depth=1
	s_add_co_i32 s8, s2, 0x85
	s_mov_b32 s9, s3
	s_wait_alu 0xfffe
	v_dual_mov_b32 v1, s8 :: v_dual_mov_b32 v2, s9
	global_store_b64 v0, v[1:2], s[6:7] scope:SCOPE_SYS
.LBB0_268:                              ;   Parent Loop BB0_1 Depth=1
                                        ; =>  This Inner Loop Header: Depth=2
	global_load_b64 v[1:2], v0, s[4:5] scope:SCOPE_SYS
	s_wait_loadcnt 0x0
	v_cmp_ne_u64_e32 vcc_lo, s[8:9], v[1:2]
	s_cbranch_vccnz .LBB0_268
; %bb.269:                              ;   in Loop: Header=BB0_1 Depth=1
	s_add_co_i32 s8, s2, 0x86
	s_mov_b32 s9, s3
	s_wait_alu 0xfffe
	v_dual_mov_b32 v1, s8 :: v_dual_mov_b32 v2, s9
	global_store_b64 v0, v[1:2], s[6:7] scope:SCOPE_SYS
.LBB0_270:                              ;   Parent Loop BB0_1 Depth=1
                                        ; =>  This Inner Loop Header: Depth=2
	global_load_b64 v[1:2], v0, s[4:5] scope:SCOPE_SYS
	s_wait_loadcnt 0x0
	v_cmp_ne_u64_e32 vcc_lo, s[8:9], v[1:2]
	s_cbranch_vccnz .LBB0_270
; %bb.271:                              ;   in Loop: Header=BB0_1 Depth=1
	s_add_co_i32 s8, s2, 0x87
	s_mov_b32 s9, s3
	s_wait_alu 0xfffe
	v_dual_mov_b32 v1, s8 :: v_dual_mov_b32 v2, s9
	global_store_b64 v0, v[1:2], s[6:7] scope:SCOPE_SYS
.LBB0_272:                              ;   Parent Loop BB0_1 Depth=1
                                        ; =>  This Inner Loop Header: Depth=2
	global_load_b64 v[1:2], v0, s[4:5] scope:SCOPE_SYS
	s_wait_loadcnt 0x0
	v_cmp_ne_u64_e32 vcc_lo, s[8:9], v[1:2]
	s_cbranch_vccnz .LBB0_272
; %bb.273:                              ;   in Loop: Header=BB0_1 Depth=1
	s_add_co_i32 s8, s2, 0x88
	s_mov_b32 s9, s3
	s_wait_alu 0xfffe
	v_dual_mov_b32 v1, s8 :: v_dual_mov_b32 v2, s9
	global_store_b64 v0, v[1:2], s[6:7] scope:SCOPE_SYS
.LBB0_274:                              ;   Parent Loop BB0_1 Depth=1
                                        ; =>  This Inner Loop Header: Depth=2
	global_load_b64 v[1:2], v0, s[4:5] scope:SCOPE_SYS
	s_wait_loadcnt 0x0
	v_cmp_ne_u64_e32 vcc_lo, s[8:9], v[1:2]
	s_cbranch_vccnz .LBB0_274
; %bb.275:                              ;   in Loop: Header=BB0_1 Depth=1
	s_add_co_i32 s8, s2, 0x89
	s_mov_b32 s9, s3
	s_wait_alu 0xfffe
	v_dual_mov_b32 v1, s8 :: v_dual_mov_b32 v2, s9
	global_store_b64 v0, v[1:2], s[6:7] scope:SCOPE_SYS
.LBB0_276:                              ;   Parent Loop BB0_1 Depth=1
                                        ; =>  This Inner Loop Header: Depth=2
	global_load_b64 v[1:2], v0, s[4:5] scope:SCOPE_SYS
	s_wait_loadcnt 0x0
	v_cmp_ne_u64_e32 vcc_lo, s[8:9], v[1:2]
	s_cbranch_vccnz .LBB0_276
; %bb.277:                              ;   in Loop: Header=BB0_1 Depth=1
	s_add_co_i32 s8, s2, 0x8a
	s_mov_b32 s9, s3
	s_wait_alu 0xfffe
	v_dual_mov_b32 v1, s8 :: v_dual_mov_b32 v2, s9
	global_store_b64 v0, v[1:2], s[6:7] scope:SCOPE_SYS
.LBB0_278:                              ;   Parent Loop BB0_1 Depth=1
                                        ; =>  This Inner Loop Header: Depth=2
	global_load_b64 v[1:2], v0, s[4:5] scope:SCOPE_SYS
	s_wait_loadcnt 0x0
	v_cmp_ne_u64_e32 vcc_lo, s[8:9], v[1:2]
	s_cbranch_vccnz .LBB0_278
; %bb.279:                              ;   in Loop: Header=BB0_1 Depth=1
	s_add_co_i32 s8, s2, 0x8b
	s_mov_b32 s9, s3
	s_wait_alu 0xfffe
	v_dual_mov_b32 v1, s8 :: v_dual_mov_b32 v2, s9
	global_store_b64 v0, v[1:2], s[6:7] scope:SCOPE_SYS
.LBB0_280:                              ;   Parent Loop BB0_1 Depth=1
                                        ; =>  This Inner Loop Header: Depth=2
	global_load_b64 v[1:2], v0, s[4:5] scope:SCOPE_SYS
	s_wait_loadcnt 0x0
	v_cmp_ne_u64_e32 vcc_lo, s[8:9], v[1:2]
	s_cbranch_vccnz .LBB0_280
; %bb.281:                              ;   in Loop: Header=BB0_1 Depth=1
	s_add_co_i32 s8, s2, 0x8c
	s_mov_b32 s9, s3
	s_wait_alu 0xfffe
	v_dual_mov_b32 v1, s8 :: v_dual_mov_b32 v2, s9
	global_store_b64 v0, v[1:2], s[6:7] scope:SCOPE_SYS
.LBB0_282:                              ;   Parent Loop BB0_1 Depth=1
                                        ; =>  This Inner Loop Header: Depth=2
	global_load_b64 v[1:2], v0, s[4:5] scope:SCOPE_SYS
	s_wait_loadcnt 0x0
	v_cmp_ne_u64_e32 vcc_lo, s[8:9], v[1:2]
	s_cbranch_vccnz .LBB0_282
; %bb.283:                              ;   in Loop: Header=BB0_1 Depth=1
	s_add_co_i32 s8, s2, 0x8d
	s_mov_b32 s9, s3
	s_wait_alu 0xfffe
	v_dual_mov_b32 v1, s8 :: v_dual_mov_b32 v2, s9
	global_store_b64 v0, v[1:2], s[6:7] scope:SCOPE_SYS
.LBB0_284:                              ;   Parent Loop BB0_1 Depth=1
                                        ; =>  This Inner Loop Header: Depth=2
	global_load_b64 v[1:2], v0, s[4:5] scope:SCOPE_SYS
	s_wait_loadcnt 0x0
	v_cmp_ne_u64_e32 vcc_lo, s[8:9], v[1:2]
	s_cbranch_vccnz .LBB0_284
; %bb.285:                              ;   in Loop: Header=BB0_1 Depth=1
	s_add_co_i32 s8, s2, 0x8e
	s_mov_b32 s9, s3
	s_wait_alu 0xfffe
	v_dual_mov_b32 v1, s8 :: v_dual_mov_b32 v2, s9
	global_store_b64 v0, v[1:2], s[6:7] scope:SCOPE_SYS
.LBB0_286:                              ;   Parent Loop BB0_1 Depth=1
                                        ; =>  This Inner Loop Header: Depth=2
	global_load_b64 v[1:2], v0, s[4:5] scope:SCOPE_SYS
	s_wait_loadcnt 0x0
	v_cmp_ne_u64_e32 vcc_lo, s[8:9], v[1:2]
	s_cbranch_vccnz .LBB0_286
; %bb.287:                              ;   in Loop: Header=BB0_1 Depth=1
	s_add_co_i32 s8, s2, 0x8f
	s_mov_b32 s9, s3
	s_wait_alu 0xfffe
	v_dual_mov_b32 v1, s8 :: v_dual_mov_b32 v2, s9
	global_store_b64 v0, v[1:2], s[6:7] scope:SCOPE_SYS
.LBB0_288:                              ;   Parent Loop BB0_1 Depth=1
                                        ; =>  This Inner Loop Header: Depth=2
	global_load_b64 v[1:2], v0, s[4:5] scope:SCOPE_SYS
	s_wait_loadcnt 0x0
	v_cmp_ne_u64_e32 vcc_lo, s[8:9], v[1:2]
	s_cbranch_vccnz .LBB0_288
; %bb.289:                              ;   in Loop: Header=BB0_1 Depth=1
	s_add_co_i32 s8, s2, 0x90
	s_mov_b32 s9, s3
	s_wait_alu 0xfffe
	v_dual_mov_b32 v1, s8 :: v_dual_mov_b32 v2, s9
	global_store_b64 v0, v[1:2], s[6:7] scope:SCOPE_SYS
.LBB0_290:                              ;   Parent Loop BB0_1 Depth=1
                                        ; =>  This Inner Loop Header: Depth=2
	global_load_b64 v[1:2], v0, s[4:5] scope:SCOPE_SYS
	s_wait_loadcnt 0x0
	v_cmp_ne_u64_e32 vcc_lo, s[8:9], v[1:2]
	s_cbranch_vccnz .LBB0_290
; %bb.291:                              ;   in Loop: Header=BB0_1 Depth=1
	s_add_co_i32 s8, s2, 0x91
	s_mov_b32 s9, s3
	s_wait_alu 0xfffe
	v_dual_mov_b32 v1, s8 :: v_dual_mov_b32 v2, s9
	global_store_b64 v0, v[1:2], s[6:7] scope:SCOPE_SYS
.LBB0_292:                              ;   Parent Loop BB0_1 Depth=1
                                        ; =>  This Inner Loop Header: Depth=2
	global_load_b64 v[1:2], v0, s[4:5] scope:SCOPE_SYS
	s_wait_loadcnt 0x0
	v_cmp_ne_u64_e32 vcc_lo, s[8:9], v[1:2]
	s_cbranch_vccnz .LBB0_292
; %bb.293:                              ;   in Loop: Header=BB0_1 Depth=1
	s_add_co_i32 s8, s2, 0x92
	s_mov_b32 s9, s3
	s_wait_alu 0xfffe
	v_dual_mov_b32 v1, s8 :: v_dual_mov_b32 v2, s9
	global_store_b64 v0, v[1:2], s[6:7] scope:SCOPE_SYS
.LBB0_294:                              ;   Parent Loop BB0_1 Depth=1
                                        ; =>  This Inner Loop Header: Depth=2
	global_load_b64 v[1:2], v0, s[4:5] scope:SCOPE_SYS
	s_wait_loadcnt 0x0
	v_cmp_ne_u64_e32 vcc_lo, s[8:9], v[1:2]
	s_cbranch_vccnz .LBB0_294
; %bb.295:                              ;   in Loop: Header=BB0_1 Depth=1
	s_add_co_i32 s8, s2, 0x93
	s_mov_b32 s9, s3
	s_wait_alu 0xfffe
	v_dual_mov_b32 v1, s8 :: v_dual_mov_b32 v2, s9
	global_store_b64 v0, v[1:2], s[6:7] scope:SCOPE_SYS
.LBB0_296:                              ;   Parent Loop BB0_1 Depth=1
                                        ; =>  This Inner Loop Header: Depth=2
	global_load_b64 v[1:2], v0, s[4:5] scope:SCOPE_SYS
	s_wait_loadcnt 0x0
	v_cmp_ne_u64_e32 vcc_lo, s[8:9], v[1:2]
	s_cbranch_vccnz .LBB0_296
; %bb.297:                              ;   in Loop: Header=BB0_1 Depth=1
	s_add_co_i32 s8, s2, 0x94
	s_mov_b32 s9, s3
	s_wait_alu 0xfffe
	v_dual_mov_b32 v1, s8 :: v_dual_mov_b32 v2, s9
	global_store_b64 v0, v[1:2], s[6:7] scope:SCOPE_SYS
.LBB0_298:                              ;   Parent Loop BB0_1 Depth=1
                                        ; =>  This Inner Loop Header: Depth=2
	global_load_b64 v[1:2], v0, s[4:5] scope:SCOPE_SYS
	s_wait_loadcnt 0x0
	v_cmp_ne_u64_e32 vcc_lo, s[8:9], v[1:2]
	s_cbranch_vccnz .LBB0_298
; %bb.299:                              ;   in Loop: Header=BB0_1 Depth=1
	s_add_co_i32 s8, s2, 0x95
	s_mov_b32 s9, s3
	s_wait_alu 0xfffe
	v_dual_mov_b32 v1, s8 :: v_dual_mov_b32 v2, s9
	global_store_b64 v0, v[1:2], s[6:7] scope:SCOPE_SYS
.LBB0_300:                              ;   Parent Loop BB0_1 Depth=1
                                        ; =>  This Inner Loop Header: Depth=2
	global_load_b64 v[1:2], v0, s[4:5] scope:SCOPE_SYS
	s_wait_loadcnt 0x0
	v_cmp_ne_u64_e32 vcc_lo, s[8:9], v[1:2]
	s_cbranch_vccnz .LBB0_300
; %bb.301:                              ;   in Loop: Header=BB0_1 Depth=1
	s_add_co_i32 s8, s2, 0x96
	s_mov_b32 s9, s3
	s_wait_alu 0xfffe
	v_dual_mov_b32 v1, s8 :: v_dual_mov_b32 v2, s9
	global_store_b64 v0, v[1:2], s[6:7] scope:SCOPE_SYS
.LBB0_302:                              ;   Parent Loop BB0_1 Depth=1
                                        ; =>  This Inner Loop Header: Depth=2
	global_load_b64 v[1:2], v0, s[4:5] scope:SCOPE_SYS
	s_wait_loadcnt 0x0
	v_cmp_ne_u64_e32 vcc_lo, s[8:9], v[1:2]
	s_cbranch_vccnz .LBB0_302
; %bb.303:                              ;   in Loop: Header=BB0_1 Depth=1
	s_add_co_i32 s8, s2, 0x97
	s_mov_b32 s9, s3
	s_wait_alu 0xfffe
	v_dual_mov_b32 v1, s8 :: v_dual_mov_b32 v2, s9
	global_store_b64 v0, v[1:2], s[6:7] scope:SCOPE_SYS
.LBB0_304:                              ;   Parent Loop BB0_1 Depth=1
                                        ; =>  This Inner Loop Header: Depth=2
	global_load_b64 v[1:2], v0, s[4:5] scope:SCOPE_SYS
	s_wait_loadcnt 0x0
	v_cmp_ne_u64_e32 vcc_lo, s[8:9], v[1:2]
	s_cbranch_vccnz .LBB0_304
; %bb.305:                              ;   in Loop: Header=BB0_1 Depth=1
	s_add_co_i32 s8, s2, 0x98
	s_mov_b32 s9, s3
	s_wait_alu 0xfffe
	v_dual_mov_b32 v1, s8 :: v_dual_mov_b32 v2, s9
	global_store_b64 v0, v[1:2], s[6:7] scope:SCOPE_SYS
.LBB0_306:                              ;   Parent Loop BB0_1 Depth=1
                                        ; =>  This Inner Loop Header: Depth=2
	global_load_b64 v[1:2], v0, s[4:5] scope:SCOPE_SYS
	s_wait_loadcnt 0x0
	v_cmp_ne_u64_e32 vcc_lo, s[8:9], v[1:2]
	s_cbranch_vccnz .LBB0_306
; %bb.307:                              ;   in Loop: Header=BB0_1 Depth=1
	s_add_co_i32 s8, s2, 0x99
	s_mov_b32 s9, s3
	s_wait_alu 0xfffe
	v_dual_mov_b32 v1, s8 :: v_dual_mov_b32 v2, s9
	global_store_b64 v0, v[1:2], s[6:7] scope:SCOPE_SYS
.LBB0_308:                              ;   Parent Loop BB0_1 Depth=1
                                        ; =>  This Inner Loop Header: Depth=2
	global_load_b64 v[1:2], v0, s[4:5] scope:SCOPE_SYS
	s_wait_loadcnt 0x0
	v_cmp_ne_u64_e32 vcc_lo, s[8:9], v[1:2]
	s_cbranch_vccnz .LBB0_308
; %bb.309:                              ;   in Loop: Header=BB0_1 Depth=1
	s_add_co_i32 s8, s2, 0x9a
	s_mov_b32 s9, s3
	s_wait_alu 0xfffe
	v_dual_mov_b32 v1, s8 :: v_dual_mov_b32 v2, s9
	global_store_b64 v0, v[1:2], s[6:7] scope:SCOPE_SYS
.LBB0_310:                              ;   Parent Loop BB0_1 Depth=1
                                        ; =>  This Inner Loop Header: Depth=2
	global_load_b64 v[1:2], v0, s[4:5] scope:SCOPE_SYS
	s_wait_loadcnt 0x0
	v_cmp_ne_u64_e32 vcc_lo, s[8:9], v[1:2]
	s_cbranch_vccnz .LBB0_310
; %bb.311:                              ;   in Loop: Header=BB0_1 Depth=1
	s_add_co_i32 s8, s2, 0x9b
	s_mov_b32 s9, s3
	s_wait_alu 0xfffe
	v_dual_mov_b32 v1, s8 :: v_dual_mov_b32 v2, s9
	global_store_b64 v0, v[1:2], s[6:7] scope:SCOPE_SYS
.LBB0_312:                              ;   Parent Loop BB0_1 Depth=1
                                        ; =>  This Inner Loop Header: Depth=2
	global_load_b64 v[1:2], v0, s[4:5] scope:SCOPE_SYS
	s_wait_loadcnt 0x0
	v_cmp_ne_u64_e32 vcc_lo, s[8:9], v[1:2]
	s_cbranch_vccnz .LBB0_312
; %bb.313:                              ;   in Loop: Header=BB0_1 Depth=1
	s_add_co_i32 s8, s2, 0x9c
	s_mov_b32 s9, s3
	s_wait_alu 0xfffe
	v_dual_mov_b32 v1, s8 :: v_dual_mov_b32 v2, s9
	global_store_b64 v0, v[1:2], s[6:7] scope:SCOPE_SYS
.LBB0_314:                              ;   Parent Loop BB0_1 Depth=1
                                        ; =>  This Inner Loop Header: Depth=2
	global_load_b64 v[1:2], v0, s[4:5] scope:SCOPE_SYS
	s_wait_loadcnt 0x0
	v_cmp_ne_u64_e32 vcc_lo, s[8:9], v[1:2]
	s_cbranch_vccnz .LBB0_314
; %bb.315:                              ;   in Loop: Header=BB0_1 Depth=1
	s_add_co_i32 s8, s2, 0x9d
	s_mov_b32 s9, s3
	s_wait_alu 0xfffe
	v_dual_mov_b32 v1, s8 :: v_dual_mov_b32 v2, s9
	global_store_b64 v0, v[1:2], s[6:7] scope:SCOPE_SYS
.LBB0_316:                              ;   Parent Loop BB0_1 Depth=1
                                        ; =>  This Inner Loop Header: Depth=2
	global_load_b64 v[1:2], v0, s[4:5] scope:SCOPE_SYS
	s_wait_loadcnt 0x0
	v_cmp_ne_u64_e32 vcc_lo, s[8:9], v[1:2]
	s_cbranch_vccnz .LBB0_316
; %bb.317:                              ;   in Loop: Header=BB0_1 Depth=1
	s_add_co_i32 s8, s2, 0x9e
	s_mov_b32 s9, s3
	s_wait_alu 0xfffe
	v_dual_mov_b32 v1, s8 :: v_dual_mov_b32 v2, s9
	global_store_b64 v0, v[1:2], s[6:7] scope:SCOPE_SYS
.LBB0_318:                              ;   Parent Loop BB0_1 Depth=1
                                        ; =>  This Inner Loop Header: Depth=2
	global_load_b64 v[1:2], v0, s[4:5] scope:SCOPE_SYS
	s_wait_loadcnt 0x0
	v_cmp_ne_u64_e32 vcc_lo, s[8:9], v[1:2]
	s_cbranch_vccnz .LBB0_318
; %bb.319:                              ;   in Loop: Header=BB0_1 Depth=1
	s_add_co_i32 s8, s2, 0x9f
	s_mov_b32 s9, s3
	s_wait_alu 0xfffe
	v_dual_mov_b32 v1, s8 :: v_dual_mov_b32 v2, s9
	global_store_b64 v0, v[1:2], s[6:7] scope:SCOPE_SYS
.LBB0_320:                              ;   Parent Loop BB0_1 Depth=1
                                        ; =>  This Inner Loop Header: Depth=2
	global_load_b64 v[1:2], v0, s[4:5] scope:SCOPE_SYS
	s_wait_loadcnt 0x0
	v_cmp_ne_u64_e32 vcc_lo, s[8:9], v[1:2]
	s_cbranch_vccnz .LBB0_320
; %bb.321:                              ;   in Loop: Header=BB0_1 Depth=1
	s_add_co_i32 s8, s2, 0xa0
	s_mov_b32 s9, s3
	s_wait_alu 0xfffe
	v_dual_mov_b32 v1, s8 :: v_dual_mov_b32 v2, s9
	global_store_b64 v0, v[1:2], s[6:7] scope:SCOPE_SYS
.LBB0_322:                              ;   Parent Loop BB0_1 Depth=1
                                        ; =>  This Inner Loop Header: Depth=2
	global_load_b64 v[1:2], v0, s[4:5] scope:SCOPE_SYS
	s_wait_loadcnt 0x0
	v_cmp_ne_u64_e32 vcc_lo, s[8:9], v[1:2]
	s_cbranch_vccnz .LBB0_322
; %bb.323:                              ;   in Loop: Header=BB0_1 Depth=1
	s_add_co_i32 s8, s2, 0xa1
	s_mov_b32 s9, s3
	s_wait_alu 0xfffe
	v_dual_mov_b32 v1, s8 :: v_dual_mov_b32 v2, s9
	global_store_b64 v0, v[1:2], s[6:7] scope:SCOPE_SYS
.LBB0_324:                              ;   Parent Loop BB0_1 Depth=1
                                        ; =>  This Inner Loop Header: Depth=2
	global_load_b64 v[1:2], v0, s[4:5] scope:SCOPE_SYS
	s_wait_loadcnt 0x0
	v_cmp_ne_u64_e32 vcc_lo, s[8:9], v[1:2]
	s_cbranch_vccnz .LBB0_324
; %bb.325:                              ;   in Loop: Header=BB0_1 Depth=1
	s_add_co_i32 s8, s2, 0xa2
	s_mov_b32 s9, s3
	s_wait_alu 0xfffe
	v_dual_mov_b32 v1, s8 :: v_dual_mov_b32 v2, s9
	global_store_b64 v0, v[1:2], s[6:7] scope:SCOPE_SYS
.LBB0_326:                              ;   Parent Loop BB0_1 Depth=1
                                        ; =>  This Inner Loop Header: Depth=2
	global_load_b64 v[1:2], v0, s[4:5] scope:SCOPE_SYS
	s_wait_loadcnt 0x0
	v_cmp_ne_u64_e32 vcc_lo, s[8:9], v[1:2]
	s_cbranch_vccnz .LBB0_326
; %bb.327:                              ;   in Loop: Header=BB0_1 Depth=1
	s_add_co_i32 s8, s2, 0xa3
	s_mov_b32 s9, s3
	s_wait_alu 0xfffe
	v_dual_mov_b32 v1, s8 :: v_dual_mov_b32 v2, s9
	global_store_b64 v0, v[1:2], s[6:7] scope:SCOPE_SYS
.LBB0_328:                              ;   Parent Loop BB0_1 Depth=1
                                        ; =>  This Inner Loop Header: Depth=2
	global_load_b64 v[1:2], v0, s[4:5] scope:SCOPE_SYS
	s_wait_loadcnt 0x0
	v_cmp_ne_u64_e32 vcc_lo, s[8:9], v[1:2]
	s_cbranch_vccnz .LBB0_328
; %bb.329:                              ;   in Loop: Header=BB0_1 Depth=1
	s_add_co_i32 s8, s2, 0xa4
	s_mov_b32 s9, s3
	s_wait_alu 0xfffe
	v_dual_mov_b32 v1, s8 :: v_dual_mov_b32 v2, s9
	global_store_b64 v0, v[1:2], s[6:7] scope:SCOPE_SYS
.LBB0_330:                              ;   Parent Loop BB0_1 Depth=1
                                        ; =>  This Inner Loop Header: Depth=2
	global_load_b64 v[1:2], v0, s[4:5] scope:SCOPE_SYS
	s_wait_loadcnt 0x0
	v_cmp_ne_u64_e32 vcc_lo, s[8:9], v[1:2]
	s_cbranch_vccnz .LBB0_330
; %bb.331:                              ;   in Loop: Header=BB0_1 Depth=1
	s_add_co_i32 s8, s2, 0xa5
	s_mov_b32 s9, s3
	s_wait_alu 0xfffe
	v_dual_mov_b32 v1, s8 :: v_dual_mov_b32 v2, s9
	global_store_b64 v0, v[1:2], s[6:7] scope:SCOPE_SYS
.LBB0_332:                              ;   Parent Loop BB0_1 Depth=1
                                        ; =>  This Inner Loop Header: Depth=2
	global_load_b64 v[1:2], v0, s[4:5] scope:SCOPE_SYS
	s_wait_loadcnt 0x0
	v_cmp_ne_u64_e32 vcc_lo, s[8:9], v[1:2]
	s_cbranch_vccnz .LBB0_332
; %bb.333:                              ;   in Loop: Header=BB0_1 Depth=1
	s_add_co_i32 s8, s2, 0xa6
	s_mov_b32 s9, s3
	s_wait_alu 0xfffe
	v_dual_mov_b32 v1, s8 :: v_dual_mov_b32 v2, s9
	global_store_b64 v0, v[1:2], s[6:7] scope:SCOPE_SYS
.LBB0_334:                              ;   Parent Loop BB0_1 Depth=1
                                        ; =>  This Inner Loop Header: Depth=2
	global_load_b64 v[1:2], v0, s[4:5] scope:SCOPE_SYS
	s_wait_loadcnt 0x0
	v_cmp_ne_u64_e32 vcc_lo, s[8:9], v[1:2]
	s_cbranch_vccnz .LBB0_334
; %bb.335:                              ;   in Loop: Header=BB0_1 Depth=1
	s_add_co_i32 s8, s2, 0xa7
	s_mov_b32 s9, s3
	s_wait_alu 0xfffe
	v_dual_mov_b32 v1, s8 :: v_dual_mov_b32 v2, s9
	global_store_b64 v0, v[1:2], s[6:7] scope:SCOPE_SYS
.LBB0_336:                              ;   Parent Loop BB0_1 Depth=1
                                        ; =>  This Inner Loop Header: Depth=2
	global_load_b64 v[1:2], v0, s[4:5] scope:SCOPE_SYS
	s_wait_loadcnt 0x0
	v_cmp_ne_u64_e32 vcc_lo, s[8:9], v[1:2]
	s_cbranch_vccnz .LBB0_336
; %bb.337:                              ;   in Loop: Header=BB0_1 Depth=1
	s_add_co_i32 s8, s2, 0xa8
	s_mov_b32 s9, s3
	s_wait_alu 0xfffe
	v_dual_mov_b32 v1, s8 :: v_dual_mov_b32 v2, s9
	global_store_b64 v0, v[1:2], s[6:7] scope:SCOPE_SYS
.LBB0_338:                              ;   Parent Loop BB0_1 Depth=1
                                        ; =>  This Inner Loop Header: Depth=2
	global_load_b64 v[1:2], v0, s[4:5] scope:SCOPE_SYS
	s_wait_loadcnt 0x0
	v_cmp_ne_u64_e32 vcc_lo, s[8:9], v[1:2]
	s_cbranch_vccnz .LBB0_338
; %bb.339:                              ;   in Loop: Header=BB0_1 Depth=1
	s_add_co_i32 s8, s2, 0xa9
	s_mov_b32 s9, s3
	s_wait_alu 0xfffe
	v_dual_mov_b32 v1, s8 :: v_dual_mov_b32 v2, s9
	global_store_b64 v0, v[1:2], s[6:7] scope:SCOPE_SYS
.LBB0_340:                              ;   Parent Loop BB0_1 Depth=1
                                        ; =>  This Inner Loop Header: Depth=2
	global_load_b64 v[1:2], v0, s[4:5] scope:SCOPE_SYS
	s_wait_loadcnt 0x0
	v_cmp_ne_u64_e32 vcc_lo, s[8:9], v[1:2]
	s_cbranch_vccnz .LBB0_340
; %bb.341:                              ;   in Loop: Header=BB0_1 Depth=1
	s_add_co_i32 s8, s2, 0xaa
	s_mov_b32 s9, s3
	s_wait_alu 0xfffe
	v_dual_mov_b32 v1, s8 :: v_dual_mov_b32 v2, s9
	global_store_b64 v0, v[1:2], s[6:7] scope:SCOPE_SYS
.LBB0_342:                              ;   Parent Loop BB0_1 Depth=1
                                        ; =>  This Inner Loop Header: Depth=2
	global_load_b64 v[1:2], v0, s[4:5] scope:SCOPE_SYS
	s_wait_loadcnt 0x0
	v_cmp_ne_u64_e32 vcc_lo, s[8:9], v[1:2]
	s_cbranch_vccnz .LBB0_342
; %bb.343:                              ;   in Loop: Header=BB0_1 Depth=1
	s_add_co_i32 s8, s2, 0xab
	s_mov_b32 s9, s3
	s_wait_alu 0xfffe
	v_dual_mov_b32 v1, s8 :: v_dual_mov_b32 v2, s9
	global_store_b64 v0, v[1:2], s[6:7] scope:SCOPE_SYS
.LBB0_344:                              ;   Parent Loop BB0_1 Depth=1
                                        ; =>  This Inner Loop Header: Depth=2
	global_load_b64 v[1:2], v0, s[4:5] scope:SCOPE_SYS
	s_wait_loadcnt 0x0
	v_cmp_ne_u64_e32 vcc_lo, s[8:9], v[1:2]
	s_cbranch_vccnz .LBB0_344
; %bb.345:                              ;   in Loop: Header=BB0_1 Depth=1
	s_add_co_i32 s8, s2, 0xac
	s_mov_b32 s9, s3
	s_wait_alu 0xfffe
	v_dual_mov_b32 v1, s8 :: v_dual_mov_b32 v2, s9
	global_store_b64 v0, v[1:2], s[6:7] scope:SCOPE_SYS
.LBB0_346:                              ;   Parent Loop BB0_1 Depth=1
                                        ; =>  This Inner Loop Header: Depth=2
	global_load_b64 v[1:2], v0, s[4:5] scope:SCOPE_SYS
	s_wait_loadcnt 0x0
	v_cmp_ne_u64_e32 vcc_lo, s[8:9], v[1:2]
	s_cbranch_vccnz .LBB0_346
; %bb.347:                              ;   in Loop: Header=BB0_1 Depth=1
	s_add_co_i32 s8, s2, 0xad
	s_mov_b32 s9, s3
	s_wait_alu 0xfffe
	v_dual_mov_b32 v1, s8 :: v_dual_mov_b32 v2, s9
	global_store_b64 v0, v[1:2], s[6:7] scope:SCOPE_SYS
.LBB0_348:                              ;   Parent Loop BB0_1 Depth=1
                                        ; =>  This Inner Loop Header: Depth=2
	global_load_b64 v[1:2], v0, s[4:5] scope:SCOPE_SYS
	s_wait_loadcnt 0x0
	v_cmp_ne_u64_e32 vcc_lo, s[8:9], v[1:2]
	s_cbranch_vccnz .LBB0_348
; %bb.349:                              ;   in Loop: Header=BB0_1 Depth=1
	s_add_co_i32 s8, s2, 0xae
	s_mov_b32 s9, s3
	s_wait_alu 0xfffe
	v_dual_mov_b32 v1, s8 :: v_dual_mov_b32 v2, s9
	global_store_b64 v0, v[1:2], s[6:7] scope:SCOPE_SYS
.LBB0_350:                              ;   Parent Loop BB0_1 Depth=1
                                        ; =>  This Inner Loop Header: Depth=2
	global_load_b64 v[1:2], v0, s[4:5] scope:SCOPE_SYS
	s_wait_loadcnt 0x0
	v_cmp_ne_u64_e32 vcc_lo, s[8:9], v[1:2]
	s_cbranch_vccnz .LBB0_350
; %bb.351:                              ;   in Loop: Header=BB0_1 Depth=1
	s_add_co_i32 s8, s2, 0xaf
	s_mov_b32 s9, s3
	s_wait_alu 0xfffe
	v_dual_mov_b32 v1, s8 :: v_dual_mov_b32 v2, s9
	global_store_b64 v0, v[1:2], s[6:7] scope:SCOPE_SYS
.LBB0_352:                              ;   Parent Loop BB0_1 Depth=1
                                        ; =>  This Inner Loop Header: Depth=2
	global_load_b64 v[1:2], v0, s[4:5] scope:SCOPE_SYS
	s_wait_loadcnt 0x0
	v_cmp_ne_u64_e32 vcc_lo, s[8:9], v[1:2]
	s_cbranch_vccnz .LBB0_352
; %bb.353:                              ;   in Loop: Header=BB0_1 Depth=1
	s_add_co_i32 s8, s2, 0xb0
	s_mov_b32 s9, s3
	s_wait_alu 0xfffe
	v_dual_mov_b32 v1, s8 :: v_dual_mov_b32 v2, s9
	global_store_b64 v0, v[1:2], s[6:7] scope:SCOPE_SYS
.LBB0_354:                              ;   Parent Loop BB0_1 Depth=1
                                        ; =>  This Inner Loop Header: Depth=2
	global_load_b64 v[1:2], v0, s[4:5] scope:SCOPE_SYS
	s_wait_loadcnt 0x0
	v_cmp_ne_u64_e32 vcc_lo, s[8:9], v[1:2]
	s_cbranch_vccnz .LBB0_354
; %bb.355:                              ;   in Loop: Header=BB0_1 Depth=1
	s_add_co_i32 s8, s2, 0xb1
	s_mov_b32 s9, s3
	s_wait_alu 0xfffe
	v_dual_mov_b32 v1, s8 :: v_dual_mov_b32 v2, s9
	global_store_b64 v0, v[1:2], s[6:7] scope:SCOPE_SYS
.LBB0_356:                              ;   Parent Loop BB0_1 Depth=1
                                        ; =>  This Inner Loop Header: Depth=2
	global_load_b64 v[1:2], v0, s[4:5] scope:SCOPE_SYS
	s_wait_loadcnt 0x0
	v_cmp_ne_u64_e32 vcc_lo, s[8:9], v[1:2]
	s_cbranch_vccnz .LBB0_356
; %bb.357:                              ;   in Loop: Header=BB0_1 Depth=1
	s_add_co_i32 s8, s2, 0xb2
	s_mov_b32 s9, s3
	s_wait_alu 0xfffe
	v_dual_mov_b32 v1, s8 :: v_dual_mov_b32 v2, s9
	global_store_b64 v0, v[1:2], s[6:7] scope:SCOPE_SYS
.LBB0_358:                              ;   Parent Loop BB0_1 Depth=1
                                        ; =>  This Inner Loop Header: Depth=2
	global_load_b64 v[1:2], v0, s[4:5] scope:SCOPE_SYS
	s_wait_loadcnt 0x0
	v_cmp_ne_u64_e32 vcc_lo, s[8:9], v[1:2]
	s_cbranch_vccnz .LBB0_358
; %bb.359:                              ;   in Loop: Header=BB0_1 Depth=1
	s_add_co_i32 s8, s2, 0xb3
	s_mov_b32 s9, s3
	s_wait_alu 0xfffe
	v_dual_mov_b32 v1, s8 :: v_dual_mov_b32 v2, s9
	global_store_b64 v0, v[1:2], s[6:7] scope:SCOPE_SYS
.LBB0_360:                              ;   Parent Loop BB0_1 Depth=1
                                        ; =>  This Inner Loop Header: Depth=2
	global_load_b64 v[1:2], v0, s[4:5] scope:SCOPE_SYS
	s_wait_loadcnt 0x0
	v_cmp_ne_u64_e32 vcc_lo, s[8:9], v[1:2]
	s_cbranch_vccnz .LBB0_360
; %bb.361:                              ;   in Loop: Header=BB0_1 Depth=1
	s_add_co_i32 s8, s2, 0xb4
	s_mov_b32 s9, s3
	s_wait_alu 0xfffe
	v_dual_mov_b32 v1, s8 :: v_dual_mov_b32 v2, s9
	global_store_b64 v0, v[1:2], s[6:7] scope:SCOPE_SYS
.LBB0_362:                              ;   Parent Loop BB0_1 Depth=1
                                        ; =>  This Inner Loop Header: Depth=2
	global_load_b64 v[1:2], v0, s[4:5] scope:SCOPE_SYS
	s_wait_loadcnt 0x0
	v_cmp_ne_u64_e32 vcc_lo, s[8:9], v[1:2]
	s_cbranch_vccnz .LBB0_362
; %bb.363:                              ;   in Loop: Header=BB0_1 Depth=1
	s_add_co_i32 s8, s2, 0xb5
	s_mov_b32 s9, s3
	s_wait_alu 0xfffe
	v_dual_mov_b32 v1, s8 :: v_dual_mov_b32 v2, s9
	global_store_b64 v0, v[1:2], s[6:7] scope:SCOPE_SYS
.LBB0_364:                              ;   Parent Loop BB0_1 Depth=1
                                        ; =>  This Inner Loop Header: Depth=2
	global_load_b64 v[1:2], v0, s[4:5] scope:SCOPE_SYS
	s_wait_loadcnt 0x0
	v_cmp_ne_u64_e32 vcc_lo, s[8:9], v[1:2]
	s_cbranch_vccnz .LBB0_364
; %bb.365:                              ;   in Loop: Header=BB0_1 Depth=1
	s_add_co_i32 s8, s2, 0xb6
	s_mov_b32 s9, s3
	s_wait_alu 0xfffe
	v_dual_mov_b32 v1, s8 :: v_dual_mov_b32 v2, s9
	global_store_b64 v0, v[1:2], s[6:7] scope:SCOPE_SYS
.LBB0_366:                              ;   Parent Loop BB0_1 Depth=1
                                        ; =>  This Inner Loop Header: Depth=2
	global_load_b64 v[1:2], v0, s[4:5] scope:SCOPE_SYS
	s_wait_loadcnt 0x0
	v_cmp_ne_u64_e32 vcc_lo, s[8:9], v[1:2]
	s_cbranch_vccnz .LBB0_366
; %bb.367:                              ;   in Loop: Header=BB0_1 Depth=1
	s_add_co_i32 s8, s2, 0xb7
	s_mov_b32 s9, s3
	s_wait_alu 0xfffe
	v_dual_mov_b32 v1, s8 :: v_dual_mov_b32 v2, s9
	global_store_b64 v0, v[1:2], s[6:7] scope:SCOPE_SYS
.LBB0_368:                              ;   Parent Loop BB0_1 Depth=1
                                        ; =>  This Inner Loop Header: Depth=2
	global_load_b64 v[1:2], v0, s[4:5] scope:SCOPE_SYS
	s_wait_loadcnt 0x0
	v_cmp_ne_u64_e32 vcc_lo, s[8:9], v[1:2]
	s_cbranch_vccnz .LBB0_368
; %bb.369:                              ;   in Loop: Header=BB0_1 Depth=1
	s_add_co_i32 s8, s2, 0xb8
	s_mov_b32 s9, s3
	s_wait_alu 0xfffe
	v_dual_mov_b32 v1, s8 :: v_dual_mov_b32 v2, s9
	global_store_b64 v0, v[1:2], s[6:7] scope:SCOPE_SYS
.LBB0_370:                              ;   Parent Loop BB0_1 Depth=1
                                        ; =>  This Inner Loop Header: Depth=2
	global_load_b64 v[1:2], v0, s[4:5] scope:SCOPE_SYS
	s_wait_loadcnt 0x0
	v_cmp_ne_u64_e32 vcc_lo, s[8:9], v[1:2]
	s_cbranch_vccnz .LBB0_370
; %bb.371:                              ;   in Loop: Header=BB0_1 Depth=1
	s_add_co_i32 s8, s2, 0xb9
	s_mov_b32 s9, s3
	s_wait_alu 0xfffe
	v_dual_mov_b32 v1, s8 :: v_dual_mov_b32 v2, s9
	global_store_b64 v0, v[1:2], s[6:7] scope:SCOPE_SYS
.LBB0_372:                              ;   Parent Loop BB0_1 Depth=1
                                        ; =>  This Inner Loop Header: Depth=2
	global_load_b64 v[1:2], v0, s[4:5] scope:SCOPE_SYS
	s_wait_loadcnt 0x0
	v_cmp_ne_u64_e32 vcc_lo, s[8:9], v[1:2]
	s_cbranch_vccnz .LBB0_372
; %bb.373:                              ;   in Loop: Header=BB0_1 Depth=1
	s_add_co_i32 s8, s2, 0xba
	s_mov_b32 s9, s3
	s_wait_alu 0xfffe
	v_dual_mov_b32 v1, s8 :: v_dual_mov_b32 v2, s9
	global_store_b64 v0, v[1:2], s[6:7] scope:SCOPE_SYS
.LBB0_374:                              ;   Parent Loop BB0_1 Depth=1
                                        ; =>  This Inner Loop Header: Depth=2
	global_load_b64 v[1:2], v0, s[4:5] scope:SCOPE_SYS
	s_wait_loadcnt 0x0
	v_cmp_ne_u64_e32 vcc_lo, s[8:9], v[1:2]
	s_cbranch_vccnz .LBB0_374
; %bb.375:                              ;   in Loop: Header=BB0_1 Depth=1
	s_add_co_i32 s8, s2, 0xbb
	s_mov_b32 s9, s3
	s_wait_alu 0xfffe
	v_dual_mov_b32 v1, s8 :: v_dual_mov_b32 v2, s9
	global_store_b64 v0, v[1:2], s[6:7] scope:SCOPE_SYS
.LBB0_376:                              ;   Parent Loop BB0_1 Depth=1
                                        ; =>  This Inner Loop Header: Depth=2
	global_load_b64 v[1:2], v0, s[4:5] scope:SCOPE_SYS
	s_wait_loadcnt 0x0
	v_cmp_ne_u64_e32 vcc_lo, s[8:9], v[1:2]
	s_cbranch_vccnz .LBB0_376
; %bb.377:                              ;   in Loop: Header=BB0_1 Depth=1
	s_add_co_i32 s8, s2, 0xbc
	s_mov_b32 s9, s3
	s_wait_alu 0xfffe
	v_dual_mov_b32 v1, s8 :: v_dual_mov_b32 v2, s9
	global_store_b64 v0, v[1:2], s[6:7] scope:SCOPE_SYS
.LBB0_378:                              ;   Parent Loop BB0_1 Depth=1
                                        ; =>  This Inner Loop Header: Depth=2
	global_load_b64 v[1:2], v0, s[4:5] scope:SCOPE_SYS
	s_wait_loadcnt 0x0
	v_cmp_ne_u64_e32 vcc_lo, s[8:9], v[1:2]
	s_cbranch_vccnz .LBB0_378
; %bb.379:                              ;   in Loop: Header=BB0_1 Depth=1
	s_add_co_i32 s8, s2, 0xbd
	s_mov_b32 s9, s3
	s_wait_alu 0xfffe
	v_dual_mov_b32 v1, s8 :: v_dual_mov_b32 v2, s9
	global_store_b64 v0, v[1:2], s[6:7] scope:SCOPE_SYS
.LBB0_380:                              ;   Parent Loop BB0_1 Depth=1
                                        ; =>  This Inner Loop Header: Depth=2
	global_load_b64 v[1:2], v0, s[4:5] scope:SCOPE_SYS
	s_wait_loadcnt 0x0
	v_cmp_ne_u64_e32 vcc_lo, s[8:9], v[1:2]
	s_cbranch_vccnz .LBB0_380
; %bb.381:                              ;   in Loop: Header=BB0_1 Depth=1
	s_add_co_i32 s8, s2, 0xbe
	s_mov_b32 s9, s3
	s_wait_alu 0xfffe
	v_dual_mov_b32 v1, s8 :: v_dual_mov_b32 v2, s9
	global_store_b64 v0, v[1:2], s[6:7] scope:SCOPE_SYS
.LBB0_382:                              ;   Parent Loop BB0_1 Depth=1
                                        ; =>  This Inner Loop Header: Depth=2
	global_load_b64 v[1:2], v0, s[4:5] scope:SCOPE_SYS
	s_wait_loadcnt 0x0
	v_cmp_ne_u64_e32 vcc_lo, s[8:9], v[1:2]
	s_cbranch_vccnz .LBB0_382
; %bb.383:                              ;   in Loop: Header=BB0_1 Depth=1
	s_add_co_i32 s8, s2, 0xbf
	s_mov_b32 s9, s3
	s_wait_alu 0xfffe
	v_dual_mov_b32 v1, s8 :: v_dual_mov_b32 v2, s9
	global_store_b64 v0, v[1:2], s[6:7] scope:SCOPE_SYS
.LBB0_384:                              ;   Parent Loop BB0_1 Depth=1
                                        ; =>  This Inner Loop Header: Depth=2
	global_load_b64 v[1:2], v0, s[4:5] scope:SCOPE_SYS
	s_wait_loadcnt 0x0
	v_cmp_ne_u64_e32 vcc_lo, s[8:9], v[1:2]
	s_cbranch_vccnz .LBB0_384
; %bb.385:                              ;   in Loop: Header=BB0_1 Depth=1
	s_add_co_i32 s8, s2, 0xc0
	s_mov_b32 s9, s3
	s_wait_alu 0xfffe
	v_dual_mov_b32 v1, s8 :: v_dual_mov_b32 v2, s9
	global_store_b64 v0, v[1:2], s[6:7] scope:SCOPE_SYS
.LBB0_386:                              ;   Parent Loop BB0_1 Depth=1
                                        ; =>  This Inner Loop Header: Depth=2
	global_load_b64 v[1:2], v0, s[4:5] scope:SCOPE_SYS
	s_wait_loadcnt 0x0
	v_cmp_ne_u64_e32 vcc_lo, s[8:9], v[1:2]
	s_cbranch_vccnz .LBB0_386
; %bb.387:                              ;   in Loop: Header=BB0_1 Depth=1
	s_add_co_i32 s8, s2, 0xc1
	s_mov_b32 s9, s3
	s_wait_alu 0xfffe
	v_dual_mov_b32 v1, s8 :: v_dual_mov_b32 v2, s9
	global_store_b64 v0, v[1:2], s[6:7] scope:SCOPE_SYS
.LBB0_388:                              ;   Parent Loop BB0_1 Depth=1
                                        ; =>  This Inner Loop Header: Depth=2
	global_load_b64 v[1:2], v0, s[4:5] scope:SCOPE_SYS
	s_wait_loadcnt 0x0
	v_cmp_ne_u64_e32 vcc_lo, s[8:9], v[1:2]
	s_cbranch_vccnz .LBB0_388
; %bb.389:                              ;   in Loop: Header=BB0_1 Depth=1
	s_add_co_i32 s8, s2, 0xc2
	s_mov_b32 s9, s3
	s_wait_alu 0xfffe
	v_dual_mov_b32 v1, s8 :: v_dual_mov_b32 v2, s9
	global_store_b64 v0, v[1:2], s[6:7] scope:SCOPE_SYS
.LBB0_390:                              ;   Parent Loop BB0_1 Depth=1
                                        ; =>  This Inner Loop Header: Depth=2
	global_load_b64 v[1:2], v0, s[4:5] scope:SCOPE_SYS
	s_wait_loadcnt 0x0
	v_cmp_ne_u64_e32 vcc_lo, s[8:9], v[1:2]
	s_cbranch_vccnz .LBB0_390
; %bb.391:                              ;   in Loop: Header=BB0_1 Depth=1
	s_add_co_i32 s8, s2, 0xc3
	s_mov_b32 s9, s3
	s_wait_alu 0xfffe
	v_dual_mov_b32 v1, s8 :: v_dual_mov_b32 v2, s9
	global_store_b64 v0, v[1:2], s[6:7] scope:SCOPE_SYS
.LBB0_392:                              ;   Parent Loop BB0_1 Depth=1
                                        ; =>  This Inner Loop Header: Depth=2
	global_load_b64 v[1:2], v0, s[4:5] scope:SCOPE_SYS
	s_wait_loadcnt 0x0
	v_cmp_ne_u64_e32 vcc_lo, s[8:9], v[1:2]
	s_cbranch_vccnz .LBB0_392
; %bb.393:                              ;   in Loop: Header=BB0_1 Depth=1
	s_add_co_i32 s8, s2, 0xc4
	s_mov_b32 s9, s3
	s_wait_alu 0xfffe
	v_dual_mov_b32 v1, s8 :: v_dual_mov_b32 v2, s9
	global_store_b64 v0, v[1:2], s[6:7] scope:SCOPE_SYS
.LBB0_394:                              ;   Parent Loop BB0_1 Depth=1
                                        ; =>  This Inner Loop Header: Depth=2
	global_load_b64 v[1:2], v0, s[4:5] scope:SCOPE_SYS
	s_wait_loadcnt 0x0
	v_cmp_ne_u64_e32 vcc_lo, s[8:9], v[1:2]
	s_cbranch_vccnz .LBB0_394
; %bb.395:                              ;   in Loop: Header=BB0_1 Depth=1
	s_add_co_i32 s8, s2, 0xc5
	s_mov_b32 s9, s3
	s_wait_alu 0xfffe
	v_dual_mov_b32 v1, s8 :: v_dual_mov_b32 v2, s9
	global_store_b64 v0, v[1:2], s[6:7] scope:SCOPE_SYS
.LBB0_396:                              ;   Parent Loop BB0_1 Depth=1
                                        ; =>  This Inner Loop Header: Depth=2
	global_load_b64 v[1:2], v0, s[4:5] scope:SCOPE_SYS
	s_wait_loadcnt 0x0
	v_cmp_ne_u64_e32 vcc_lo, s[8:9], v[1:2]
	s_cbranch_vccnz .LBB0_396
; %bb.397:                              ;   in Loop: Header=BB0_1 Depth=1
	s_add_co_i32 s8, s2, 0xc6
	s_mov_b32 s9, s3
	s_wait_alu 0xfffe
	v_dual_mov_b32 v1, s8 :: v_dual_mov_b32 v2, s9
	global_store_b64 v0, v[1:2], s[6:7] scope:SCOPE_SYS
.LBB0_398:                              ;   Parent Loop BB0_1 Depth=1
                                        ; =>  This Inner Loop Header: Depth=2
	global_load_b64 v[1:2], v0, s[4:5] scope:SCOPE_SYS
	s_wait_loadcnt 0x0
	v_cmp_ne_u64_e32 vcc_lo, s[8:9], v[1:2]
	s_cbranch_vccnz .LBB0_398
; %bb.399:                              ;   in Loop: Header=BB0_1 Depth=1
	s_add_co_i32 s8, s2, 0xc7
	s_mov_b32 s9, s3
	s_wait_alu 0xfffe
	v_dual_mov_b32 v1, s8 :: v_dual_mov_b32 v2, s9
	global_store_b64 v0, v[1:2], s[6:7] scope:SCOPE_SYS
.LBB0_400:                              ;   Parent Loop BB0_1 Depth=1
                                        ; =>  This Inner Loop Header: Depth=2
	global_load_b64 v[1:2], v0, s[4:5] scope:SCOPE_SYS
	s_wait_loadcnt 0x0
	v_cmp_ne_u64_e32 vcc_lo, s[8:9], v[1:2]
	s_cbranch_vccnz .LBB0_400
; %bb.401:                              ;   in Loop: Header=BB0_1 Depth=1
	s_add_co_i32 s8, s2, 0xc8
	s_mov_b32 s9, s3
	s_wait_alu 0xfffe
	v_dual_mov_b32 v1, s8 :: v_dual_mov_b32 v2, s9
	global_store_b64 v0, v[1:2], s[6:7] scope:SCOPE_SYS
.LBB0_402:                              ;   Parent Loop BB0_1 Depth=1
                                        ; =>  This Inner Loop Header: Depth=2
	global_load_b64 v[1:2], v0, s[4:5] scope:SCOPE_SYS
	s_wait_loadcnt 0x0
	v_cmp_ne_u64_e32 vcc_lo, s[8:9], v[1:2]
	s_cbranch_vccnz .LBB0_402
; %bb.403:                              ;   in Loop: Header=BB0_1 Depth=1
	s_add_co_i32 s8, s2, 0xc9
	s_mov_b32 s9, s3
	s_wait_alu 0xfffe
	v_dual_mov_b32 v1, s8 :: v_dual_mov_b32 v2, s9
	global_store_b64 v0, v[1:2], s[6:7] scope:SCOPE_SYS
.LBB0_404:                              ;   Parent Loop BB0_1 Depth=1
                                        ; =>  This Inner Loop Header: Depth=2
	global_load_b64 v[1:2], v0, s[4:5] scope:SCOPE_SYS
	s_wait_loadcnt 0x0
	v_cmp_ne_u64_e32 vcc_lo, s[8:9], v[1:2]
	s_cbranch_vccnz .LBB0_404
; %bb.405:                              ;   in Loop: Header=BB0_1 Depth=1
	s_add_co_i32 s8, s2, 0xca
	s_mov_b32 s9, s3
	s_wait_alu 0xfffe
	v_dual_mov_b32 v1, s8 :: v_dual_mov_b32 v2, s9
	global_store_b64 v0, v[1:2], s[6:7] scope:SCOPE_SYS
.LBB0_406:                              ;   Parent Loop BB0_1 Depth=1
                                        ; =>  This Inner Loop Header: Depth=2
	global_load_b64 v[1:2], v0, s[4:5] scope:SCOPE_SYS
	s_wait_loadcnt 0x0
	v_cmp_ne_u64_e32 vcc_lo, s[8:9], v[1:2]
	s_cbranch_vccnz .LBB0_406
; %bb.407:                              ;   in Loop: Header=BB0_1 Depth=1
	s_add_co_i32 s8, s2, 0xcb
	s_mov_b32 s9, s3
	s_wait_alu 0xfffe
	v_dual_mov_b32 v1, s8 :: v_dual_mov_b32 v2, s9
	global_store_b64 v0, v[1:2], s[6:7] scope:SCOPE_SYS
.LBB0_408:                              ;   Parent Loop BB0_1 Depth=1
                                        ; =>  This Inner Loop Header: Depth=2
	global_load_b64 v[1:2], v0, s[4:5] scope:SCOPE_SYS
	s_wait_loadcnt 0x0
	v_cmp_ne_u64_e32 vcc_lo, s[8:9], v[1:2]
	s_cbranch_vccnz .LBB0_408
; %bb.409:                              ;   in Loop: Header=BB0_1 Depth=1
	s_add_co_i32 s8, s2, 0xcc
	s_mov_b32 s9, s3
	s_wait_alu 0xfffe
	v_dual_mov_b32 v1, s8 :: v_dual_mov_b32 v2, s9
	global_store_b64 v0, v[1:2], s[6:7] scope:SCOPE_SYS
.LBB0_410:                              ;   Parent Loop BB0_1 Depth=1
                                        ; =>  This Inner Loop Header: Depth=2
	global_load_b64 v[1:2], v0, s[4:5] scope:SCOPE_SYS
	s_wait_loadcnt 0x0
	v_cmp_ne_u64_e32 vcc_lo, s[8:9], v[1:2]
	s_cbranch_vccnz .LBB0_410
; %bb.411:                              ;   in Loop: Header=BB0_1 Depth=1
	s_add_co_i32 s8, s2, 0xcd
	s_mov_b32 s9, s3
	s_wait_alu 0xfffe
	v_dual_mov_b32 v1, s8 :: v_dual_mov_b32 v2, s9
	global_store_b64 v0, v[1:2], s[6:7] scope:SCOPE_SYS
.LBB0_412:                              ;   Parent Loop BB0_1 Depth=1
                                        ; =>  This Inner Loop Header: Depth=2
	global_load_b64 v[1:2], v0, s[4:5] scope:SCOPE_SYS
	s_wait_loadcnt 0x0
	v_cmp_ne_u64_e32 vcc_lo, s[8:9], v[1:2]
	s_cbranch_vccnz .LBB0_412
; %bb.413:                              ;   in Loop: Header=BB0_1 Depth=1
	s_add_co_i32 s8, s2, 0xce
	s_mov_b32 s9, s3
	s_wait_alu 0xfffe
	v_dual_mov_b32 v1, s8 :: v_dual_mov_b32 v2, s9
	global_store_b64 v0, v[1:2], s[6:7] scope:SCOPE_SYS
.LBB0_414:                              ;   Parent Loop BB0_1 Depth=1
                                        ; =>  This Inner Loop Header: Depth=2
	global_load_b64 v[1:2], v0, s[4:5] scope:SCOPE_SYS
	s_wait_loadcnt 0x0
	v_cmp_ne_u64_e32 vcc_lo, s[8:9], v[1:2]
	s_cbranch_vccnz .LBB0_414
; %bb.415:                              ;   in Loop: Header=BB0_1 Depth=1
	s_add_co_i32 s8, s2, 0xcf
	s_mov_b32 s9, s3
	s_wait_alu 0xfffe
	v_dual_mov_b32 v1, s8 :: v_dual_mov_b32 v2, s9
	global_store_b64 v0, v[1:2], s[6:7] scope:SCOPE_SYS
.LBB0_416:                              ;   Parent Loop BB0_1 Depth=1
                                        ; =>  This Inner Loop Header: Depth=2
	global_load_b64 v[1:2], v0, s[4:5] scope:SCOPE_SYS
	s_wait_loadcnt 0x0
	v_cmp_ne_u64_e32 vcc_lo, s[8:9], v[1:2]
	s_cbranch_vccnz .LBB0_416
; %bb.417:                              ;   in Loop: Header=BB0_1 Depth=1
	s_add_co_i32 s8, s2, 0xd0
	s_mov_b32 s9, s3
	s_wait_alu 0xfffe
	v_dual_mov_b32 v1, s8 :: v_dual_mov_b32 v2, s9
	global_store_b64 v0, v[1:2], s[6:7] scope:SCOPE_SYS
.LBB0_418:                              ;   Parent Loop BB0_1 Depth=1
                                        ; =>  This Inner Loop Header: Depth=2
	global_load_b64 v[1:2], v0, s[4:5] scope:SCOPE_SYS
	s_wait_loadcnt 0x0
	v_cmp_ne_u64_e32 vcc_lo, s[8:9], v[1:2]
	s_cbranch_vccnz .LBB0_418
; %bb.419:                              ;   in Loop: Header=BB0_1 Depth=1
	s_add_co_i32 s8, s2, 0xd1
	s_mov_b32 s9, s3
	s_wait_alu 0xfffe
	v_dual_mov_b32 v1, s8 :: v_dual_mov_b32 v2, s9
	global_store_b64 v0, v[1:2], s[6:7] scope:SCOPE_SYS
.LBB0_420:                              ;   Parent Loop BB0_1 Depth=1
                                        ; =>  This Inner Loop Header: Depth=2
	global_load_b64 v[1:2], v0, s[4:5] scope:SCOPE_SYS
	s_wait_loadcnt 0x0
	v_cmp_ne_u64_e32 vcc_lo, s[8:9], v[1:2]
	s_cbranch_vccnz .LBB0_420
; %bb.421:                              ;   in Loop: Header=BB0_1 Depth=1
	s_add_co_i32 s8, s2, 0xd2
	s_mov_b32 s9, s3
	s_wait_alu 0xfffe
	v_dual_mov_b32 v1, s8 :: v_dual_mov_b32 v2, s9
	global_store_b64 v0, v[1:2], s[6:7] scope:SCOPE_SYS
.LBB0_422:                              ;   Parent Loop BB0_1 Depth=1
                                        ; =>  This Inner Loop Header: Depth=2
	global_load_b64 v[1:2], v0, s[4:5] scope:SCOPE_SYS
	s_wait_loadcnt 0x0
	v_cmp_ne_u64_e32 vcc_lo, s[8:9], v[1:2]
	s_cbranch_vccnz .LBB0_422
; %bb.423:                              ;   in Loop: Header=BB0_1 Depth=1
	s_add_co_i32 s8, s2, 0xd3
	s_mov_b32 s9, s3
	s_wait_alu 0xfffe
	v_dual_mov_b32 v1, s8 :: v_dual_mov_b32 v2, s9
	global_store_b64 v0, v[1:2], s[6:7] scope:SCOPE_SYS
.LBB0_424:                              ;   Parent Loop BB0_1 Depth=1
                                        ; =>  This Inner Loop Header: Depth=2
	global_load_b64 v[1:2], v0, s[4:5] scope:SCOPE_SYS
	s_wait_loadcnt 0x0
	v_cmp_ne_u64_e32 vcc_lo, s[8:9], v[1:2]
	s_cbranch_vccnz .LBB0_424
; %bb.425:                              ;   in Loop: Header=BB0_1 Depth=1
	s_add_co_i32 s8, s2, 0xd4
	s_mov_b32 s9, s3
	s_wait_alu 0xfffe
	v_dual_mov_b32 v1, s8 :: v_dual_mov_b32 v2, s9
	global_store_b64 v0, v[1:2], s[6:7] scope:SCOPE_SYS
.LBB0_426:                              ;   Parent Loop BB0_1 Depth=1
                                        ; =>  This Inner Loop Header: Depth=2
	global_load_b64 v[1:2], v0, s[4:5] scope:SCOPE_SYS
	s_wait_loadcnt 0x0
	v_cmp_ne_u64_e32 vcc_lo, s[8:9], v[1:2]
	s_cbranch_vccnz .LBB0_426
; %bb.427:                              ;   in Loop: Header=BB0_1 Depth=1
	s_add_co_i32 s8, s2, 0xd5
	s_mov_b32 s9, s3
	s_wait_alu 0xfffe
	v_dual_mov_b32 v1, s8 :: v_dual_mov_b32 v2, s9
	global_store_b64 v0, v[1:2], s[6:7] scope:SCOPE_SYS
.LBB0_428:                              ;   Parent Loop BB0_1 Depth=1
                                        ; =>  This Inner Loop Header: Depth=2
	global_load_b64 v[1:2], v0, s[4:5] scope:SCOPE_SYS
	s_wait_loadcnt 0x0
	v_cmp_ne_u64_e32 vcc_lo, s[8:9], v[1:2]
	s_cbranch_vccnz .LBB0_428
; %bb.429:                              ;   in Loop: Header=BB0_1 Depth=1
	s_add_co_i32 s8, s2, 0xd6
	s_mov_b32 s9, s3
	s_wait_alu 0xfffe
	v_dual_mov_b32 v1, s8 :: v_dual_mov_b32 v2, s9
	global_store_b64 v0, v[1:2], s[6:7] scope:SCOPE_SYS
.LBB0_430:                              ;   Parent Loop BB0_1 Depth=1
                                        ; =>  This Inner Loop Header: Depth=2
	global_load_b64 v[1:2], v0, s[4:5] scope:SCOPE_SYS
	s_wait_loadcnt 0x0
	v_cmp_ne_u64_e32 vcc_lo, s[8:9], v[1:2]
	s_cbranch_vccnz .LBB0_430
; %bb.431:                              ;   in Loop: Header=BB0_1 Depth=1
	s_add_co_i32 s8, s2, 0xd7
	s_mov_b32 s9, s3
	s_wait_alu 0xfffe
	v_dual_mov_b32 v1, s8 :: v_dual_mov_b32 v2, s9
	global_store_b64 v0, v[1:2], s[6:7] scope:SCOPE_SYS
.LBB0_432:                              ;   Parent Loop BB0_1 Depth=1
                                        ; =>  This Inner Loop Header: Depth=2
	global_load_b64 v[1:2], v0, s[4:5] scope:SCOPE_SYS
	s_wait_loadcnt 0x0
	v_cmp_ne_u64_e32 vcc_lo, s[8:9], v[1:2]
	s_cbranch_vccnz .LBB0_432
; %bb.433:                              ;   in Loop: Header=BB0_1 Depth=1
	s_add_co_i32 s8, s2, 0xd8
	s_mov_b32 s9, s3
	s_wait_alu 0xfffe
	v_dual_mov_b32 v1, s8 :: v_dual_mov_b32 v2, s9
	global_store_b64 v0, v[1:2], s[6:7] scope:SCOPE_SYS
.LBB0_434:                              ;   Parent Loop BB0_1 Depth=1
                                        ; =>  This Inner Loop Header: Depth=2
	global_load_b64 v[1:2], v0, s[4:5] scope:SCOPE_SYS
	s_wait_loadcnt 0x0
	v_cmp_ne_u64_e32 vcc_lo, s[8:9], v[1:2]
	s_cbranch_vccnz .LBB0_434
; %bb.435:                              ;   in Loop: Header=BB0_1 Depth=1
	s_add_co_i32 s8, s2, 0xd9
	s_mov_b32 s9, s3
	s_wait_alu 0xfffe
	v_dual_mov_b32 v1, s8 :: v_dual_mov_b32 v2, s9
	global_store_b64 v0, v[1:2], s[6:7] scope:SCOPE_SYS
.LBB0_436:                              ;   Parent Loop BB0_1 Depth=1
                                        ; =>  This Inner Loop Header: Depth=2
	global_load_b64 v[1:2], v0, s[4:5] scope:SCOPE_SYS
	s_wait_loadcnt 0x0
	v_cmp_ne_u64_e32 vcc_lo, s[8:9], v[1:2]
	s_cbranch_vccnz .LBB0_436
; %bb.437:                              ;   in Loop: Header=BB0_1 Depth=1
	s_add_co_i32 s8, s2, 0xda
	s_mov_b32 s9, s3
	s_wait_alu 0xfffe
	v_dual_mov_b32 v1, s8 :: v_dual_mov_b32 v2, s9
	global_store_b64 v0, v[1:2], s[6:7] scope:SCOPE_SYS
.LBB0_438:                              ;   Parent Loop BB0_1 Depth=1
                                        ; =>  This Inner Loop Header: Depth=2
	global_load_b64 v[1:2], v0, s[4:5] scope:SCOPE_SYS
	s_wait_loadcnt 0x0
	v_cmp_ne_u64_e32 vcc_lo, s[8:9], v[1:2]
	s_cbranch_vccnz .LBB0_438
; %bb.439:                              ;   in Loop: Header=BB0_1 Depth=1
	s_add_co_i32 s8, s2, 0xdb
	s_mov_b32 s9, s3
	s_wait_alu 0xfffe
	v_dual_mov_b32 v1, s8 :: v_dual_mov_b32 v2, s9
	global_store_b64 v0, v[1:2], s[6:7] scope:SCOPE_SYS
.LBB0_440:                              ;   Parent Loop BB0_1 Depth=1
                                        ; =>  This Inner Loop Header: Depth=2
	global_load_b64 v[1:2], v0, s[4:5] scope:SCOPE_SYS
	s_wait_loadcnt 0x0
	v_cmp_ne_u64_e32 vcc_lo, s[8:9], v[1:2]
	s_cbranch_vccnz .LBB0_440
; %bb.441:                              ;   in Loop: Header=BB0_1 Depth=1
	s_add_co_i32 s8, s2, 0xdc
	s_mov_b32 s9, s3
	s_wait_alu 0xfffe
	v_dual_mov_b32 v1, s8 :: v_dual_mov_b32 v2, s9
	global_store_b64 v0, v[1:2], s[6:7] scope:SCOPE_SYS
.LBB0_442:                              ;   Parent Loop BB0_1 Depth=1
                                        ; =>  This Inner Loop Header: Depth=2
	global_load_b64 v[1:2], v0, s[4:5] scope:SCOPE_SYS
	s_wait_loadcnt 0x0
	v_cmp_ne_u64_e32 vcc_lo, s[8:9], v[1:2]
	s_cbranch_vccnz .LBB0_442
; %bb.443:                              ;   in Loop: Header=BB0_1 Depth=1
	s_add_co_i32 s8, s2, 0xdd
	s_mov_b32 s9, s3
	s_wait_alu 0xfffe
	v_dual_mov_b32 v1, s8 :: v_dual_mov_b32 v2, s9
	global_store_b64 v0, v[1:2], s[6:7] scope:SCOPE_SYS
.LBB0_444:                              ;   Parent Loop BB0_1 Depth=1
                                        ; =>  This Inner Loop Header: Depth=2
	global_load_b64 v[1:2], v0, s[4:5] scope:SCOPE_SYS
	s_wait_loadcnt 0x0
	v_cmp_ne_u64_e32 vcc_lo, s[8:9], v[1:2]
	s_cbranch_vccnz .LBB0_444
; %bb.445:                              ;   in Loop: Header=BB0_1 Depth=1
	s_add_co_i32 s8, s2, 0xde
	s_mov_b32 s9, s3
	s_wait_alu 0xfffe
	v_dual_mov_b32 v1, s8 :: v_dual_mov_b32 v2, s9
	global_store_b64 v0, v[1:2], s[6:7] scope:SCOPE_SYS
.LBB0_446:                              ;   Parent Loop BB0_1 Depth=1
                                        ; =>  This Inner Loop Header: Depth=2
	global_load_b64 v[1:2], v0, s[4:5] scope:SCOPE_SYS
	s_wait_loadcnt 0x0
	v_cmp_ne_u64_e32 vcc_lo, s[8:9], v[1:2]
	s_cbranch_vccnz .LBB0_446
; %bb.447:                              ;   in Loop: Header=BB0_1 Depth=1
	s_add_co_i32 s8, s2, 0xdf
	s_mov_b32 s9, s3
	s_wait_alu 0xfffe
	v_dual_mov_b32 v1, s8 :: v_dual_mov_b32 v2, s9
	global_store_b64 v0, v[1:2], s[6:7] scope:SCOPE_SYS
.LBB0_448:                              ;   Parent Loop BB0_1 Depth=1
                                        ; =>  This Inner Loop Header: Depth=2
	global_load_b64 v[1:2], v0, s[4:5] scope:SCOPE_SYS
	s_wait_loadcnt 0x0
	v_cmp_ne_u64_e32 vcc_lo, s[8:9], v[1:2]
	s_cbranch_vccnz .LBB0_448
; %bb.449:                              ;   in Loop: Header=BB0_1 Depth=1
	s_add_co_i32 s8, s2, 0xe0
	s_mov_b32 s9, s3
	s_wait_alu 0xfffe
	v_dual_mov_b32 v1, s8 :: v_dual_mov_b32 v2, s9
	global_store_b64 v0, v[1:2], s[6:7] scope:SCOPE_SYS
.LBB0_450:                              ;   Parent Loop BB0_1 Depth=1
                                        ; =>  This Inner Loop Header: Depth=2
	global_load_b64 v[1:2], v0, s[4:5] scope:SCOPE_SYS
	s_wait_loadcnt 0x0
	v_cmp_ne_u64_e32 vcc_lo, s[8:9], v[1:2]
	s_cbranch_vccnz .LBB0_450
; %bb.451:                              ;   in Loop: Header=BB0_1 Depth=1
	s_add_co_i32 s8, s2, 0xe1
	s_mov_b32 s9, s3
	s_wait_alu 0xfffe
	v_dual_mov_b32 v1, s8 :: v_dual_mov_b32 v2, s9
	global_store_b64 v0, v[1:2], s[6:7] scope:SCOPE_SYS
.LBB0_452:                              ;   Parent Loop BB0_1 Depth=1
                                        ; =>  This Inner Loop Header: Depth=2
	global_load_b64 v[1:2], v0, s[4:5] scope:SCOPE_SYS
	s_wait_loadcnt 0x0
	v_cmp_ne_u64_e32 vcc_lo, s[8:9], v[1:2]
	s_cbranch_vccnz .LBB0_452
; %bb.453:                              ;   in Loop: Header=BB0_1 Depth=1
	s_add_co_i32 s8, s2, 0xe2
	s_mov_b32 s9, s3
	s_wait_alu 0xfffe
	v_dual_mov_b32 v1, s8 :: v_dual_mov_b32 v2, s9
	global_store_b64 v0, v[1:2], s[6:7] scope:SCOPE_SYS
.LBB0_454:                              ;   Parent Loop BB0_1 Depth=1
                                        ; =>  This Inner Loop Header: Depth=2
	global_load_b64 v[1:2], v0, s[4:5] scope:SCOPE_SYS
	s_wait_loadcnt 0x0
	v_cmp_ne_u64_e32 vcc_lo, s[8:9], v[1:2]
	s_cbranch_vccnz .LBB0_454
; %bb.455:                              ;   in Loop: Header=BB0_1 Depth=1
	s_add_co_i32 s8, s2, 0xe3
	s_mov_b32 s9, s3
	s_wait_alu 0xfffe
	v_dual_mov_b32 v1, s8 :: v_dual_mov_b32 v2, s9
	global_store_b64 v0, v[1:2], s[6:7] scope:SCOPE_SYS
.LBB0_456:                              ;   Parent Loop BB0_1 Depth=1
                                        ; =>  This Inner Loop Header: Depth=2
	global_load_b64 v[1:2], v0, s[4:5] scope:SCOPE_SYS
	s_wait_loadcnt 0x0
	v_cmp_ne_u64_e32 vcc_lo, s[8:9], v[1:2]
	s_cbranch_vccnz .LBB0_456
; %bb.457:                              ;   in Loop: Header=BB0_1 Depth=1
	s_add_co_i32 s8, s2, 0xe4
	s_mov_b32 s9, s3
	s_wait_alu 0xfffe
	v_dual_mov_b32 v1, s8 :: v_dual_mov_b32 v2, s9
	global_store_b64 v0, v[1:2], s[6:7] scope:SCOPE_SYS
.LBB0_458:                              ;   Parent Loop BB0_1 Depth=1
                                        ; =>  This Inner Loop Header: Depth=2
	global_load_b64 v[1:2], v0, s[4:5] scope:SCOPE_SYS
	s_wait_loadcnt 0x0
	v_cmp_ne_u64_e32 vcc_lo, s[8:9], v[1:2]
	s_cbranch_vccnz .LBB0_458
; %bb.459:                              ;   in Loop: Header=BB0_1 Depth=1
	s_add_co_i32 s8, s2, 0xe5
	s_mov_b32 s9, s3
	s_wait_alu 0xfffe
	v_dual_mov_b32 v1, s8 :: v_dual_mov_b32 v2, s9
	global_store_b64 v0, v[1:2], s[6:7] scope:SCOPE_SYS
.LBB0_460:                              ;   Parent Loop BB0_1 Depth=1
                                        ; =>  This Inner Loop Header: Depth=2
	global_load_b64 v[1:2], v0, s[4:5] scope:SCOPE_SYS
	s_wait_loadcnt 0x0
	v_cmp_ne_u64_e32 vcc_lo, s[8:9], v[1:2]
	s_cbranch_vccnz .LBB0_460
; %bb.461:                              ;   in Loop: Header=BB0_1 Depth=1
	s_add_co_i32 s8, s2, 0xe6
	s_mov_b32 s9, s3
	s_wait_alu 0xfffe
	v_dual_mov_b32 v1, s8 :: v_dual_mov_b32 v2, s9
	global_store_b64 v0, v[1:2], s[6:7] scope:SCOPE_SYS
.LBB0_462:                              ;   Parent Loop BB0_1 Depth=1
                                        ; =>  This Inner Loop Header: Depth=2
	global_load_b64 v[1:2], v0, s[4:5] scope:SCOPE_SYS
	s_wait_loadcnt 0x0
	v_cmp_ne_u64_e32 vcc_lo, s[8:9], v[1:2]
	s_cbranch_vccnz .LBB0_462
; %bb.463:                              ;   in Loop: Header=BB0_1 Depth=1
	s_add_co_i32 s8, s2, 0xe7
	s_mov_b32 s9, s3
	s_wait_alu 0xfffe
	v_dual_mov_b32 v1, s8 :: v_dual_mov_b32 v2, s9
	global_store_b64 v0, v[1:2], s[6:7] scope:SCOPE_SYS
.LBB0_464:                              ;   Parent Loop BB0_1 Depth=1
                                        ; =>  This Inner Loop Header: Depth=2
	global_load_b64 v[1:2], v0, s[4:5] scope:SCOPE_SYS
	s_wait_loadcnt 0x0
	v_cmp_ne_u64_e32 vcc_lo, s[8:9], v[1:2]
	s_cbranch_vccnz .LBB0_464
; %bb.465:                              ;   in Loop: Header=BB0_1 Depth=1
	s_add_co_i32 s8, s2, 0xe8
	s_mov_b32 s9, s3
	s_wait_alu 0xfffe
	v_dual_mov_b32 v1, s8 :: v_dual_mov_b32 v2, s9
	global_store_b64 v0, v[1:2], s[6:7] scope:SCOPE_SYS
.LBB0_466:                              ;   Parent Loop BB0_1 Depth=1
                                        ; =>  This Inner Loop Header: Depth=2
	global_load_b64 v[1:2], v0, s[4:5] scope:SCOPE_SYS
	s_wait_loadcnt 0x0
	v_cmp_ne_u64_e32 vcc_lo, s[8:9], v[1:2]
	s_cbranch_vccnz .LBB0_466
; %bb.467:                              ;   in Loop: Header=BB0_1 Depth=1
	s_add_co_i32 s8, s2, 0xe9
	s_mov_b32 s9, s3
	s_wait_alu 0xfffe
	v_dual_mov_b32 v1, s8 :: v_dual_mov_b32 v2, s9
	global_store_b64 v0, v[1:2], s[6:7] scope:SCOPE_SYS
.LBB0_468:                              ;   Parent Loop BB0_1 Depth=1
                                        ; =>  This Inner Loop Header: Depth=2
	global_load_b64 v[1:2], v0, s[4:5] scope:SCOPE_SYS
	s_wait_loadcnt 0x0
	v_cmp_ne_u64_e32 vcc_lo, s[8:9], v[1:2]
	s_cbranch_vccnz .LBB0_468
; %bb.469:                              ;   in Loop: Header=BB0_1 Depth=1
	s_add_co_i32 s8, s2, 0xea
	s_mov_b32 s9, s3
	s_wait_alu 0xfffe
	v_dual_mov_b32 v1, s8 :: v_dual_mov_b32 v2, s9
	global_store_b64 v0, v[1:2], s[6:7] scope:SCOPE_SYS
.LBB0_470:                              ;   Parent Loop BB0_1 Depth=1
                                        ; =>  This Inner Loop Header: Depth=2
	global_load_b64 v[1:2], v0, s[4:5] scope:SCOPE_SYS
	s_wait_loadcnt 0x0
	v_cmp_ne_u64_e32 vcc_lo, s[8:9], v[1:2]
	s_cbranch_vccnz .LBB0_470
; %bb.471:                              ;   in Loop: Header=BB0_1 Depth=1
	s_add_co_i32 s8, s2, 0xeb
	s_mov_b32 s9, s3
	s_wait_alu 0xfffe
	v_dual_mov_b32 v1, s8 :: v_dual_mov_b32 v2, s9
	global_store_b64 v0, v[1:2], s[6:7] scope:SCOPE_SYS
.LBB0_472:                              ;   Parent Loop BB0_1 Depth=1
                                        ; =>  This Inner Loop Header: Depth=2
	global_load_b64 v[1:2], v0, s[4:5] scope:SCOPE_SYS
	s_wait_loadcnt 0x0
	v_cmp_ne_u64_e32 vcc_lo, s[8:9], v[1:2]
	s_cbranch_vccnz .LBB0_472
; %bb.473:                              ;   in Loop: Header=BB0_1 Depth=1
	s_add_co_i32 s8, s2, 0xec
	s_mov_b32 s9, s3
	s_wait_alu 0xfffe
	v_dual_mov_b32 v1, s8 :: v_dual_mov_b32 v2, s9
	global_store_b64 v0, v[1:2], s[6:7] scope:SCOPE_SYS
.LBB0_474:                              ;   Parent Loop BB0_1 Depth=1
                                        ; =>  This Inner Loop Header: Depth=2
	global_load_b64 v[1:2], v0, s[4:5] scope:SCOPE_SYS
	s_wait_loadcnt 0x0
	v_cmp_ne_u64_e32 vcc_lo, s[8:9], v[1:2]
	s_cbranch_vccnz .LBB0_474
; %bb.475:                              ;   in Loop: Header=BB0_1 Depth=1
	s_add_co_i32 s8, s2, 0xed
	s_mov_b32 s9, s3
	s_wait_alu 0xfffe
	v_dual_mov_b32 v1, s8 :: v_dual_mov_b32 v2, s9
	global_store_b64 v0, v[1:2], s[6:7] scope:SCOPE_SYS
.LBB0_476:                              ;   Parent Loop BB0_1 Depth=1
                                        ; =>  This Inner Loop Header: Depth=2
	global_load_b64 v[1:2], v0, s[4:5] scope:SCOPE_SYS
	s_wait_loadcnt 0x0
	v_cmp_ne_u64_e32 vcc_lo, s[8:9], v[1:2]
	s_cbranch_vccnz .LBB0_476
; %bb.477:                              ;   in Loop: Header=BB0_1 Depth=1
	s_add_co_i32 s8, s2, 0xee
	s_mov_b32 s9, s3
	s_wait_alu 0xfffe
	v_dual_mov_b32 v1, s8 :: v_dual_mov_b32 v2, s9
	global_store_b64 v0, v[1:2], s[6:7] scope:SCOPE_SYS
.LBB0_478:                              ;   Parent Loop BB0_1 Depth=1
                                        ; =>  This Inner Loop Header: Depth=2
	global_load_b64 v[1:2], v0, s[4:5] scope:SCOPE_SYS
	s_wait_loadcnt 0x0
	v_cmp_ne_u64_e32 vcc_lo, s[8:9], v[1:2]
	s_cbranch_vccnz .LBB0_478
; %bb.479:                              ;   in Loop: Header=BB0_1 Depth=1
	s_add_co_i32 s8, s2, 0xef
	s_mov_b32 s9, s3
	s_wait_alu 0xfffe
	v_dual_mov_b32 v1, s8 :: v_dual_mov_b32 v2, s9
	global_store_b64 v0, v[1:2], s[6:7] scope:SCOPE_SYS
.LBB0_480:                              ;   Parent Loop BB0_1 Depth=1
                                        ; =>  This Inner Loop Header: Depth=2
	global_load_b64 v[1:2], v0, s[4:5] scope:SCOPE_SYS
	s_wait_loadcnt 0x0
	v_cmp_ne_u64_e32 vcc_lo, s[8:9], v[1:2]
	s_cbranch_vccnz .LBB0_480
; %bb.481:                              ;   in Loop: Header=BB0_1 Depth=1
	s_add_co_i32 s8, s2, 0xf0
	s_mov_b32 s9, s3
	s_wait_alu 0xfffe
	v_dual_mov_b32 v1, s8 :: v_dual_mov_b32 v2, s9
	global_store_b64 v0, v[1:2], s[6:7] scope:SCOPE_SYS
.LBB0_482:                              ;   Parent Loop BB0_1 Depth=1
                                        ; =>  This Inner Loop Header: Depth=2
	global_load_b64 v[1:2], v0, s[4:5] scope:SCOPE_SYS
	s_wait_loadcnt 0x0
	v_cmp_ne_u64_e32 vcc_lo, s[8:9], v[1:2]
	s_cbranch_vccnz .LBB0_482
; %bb.483:                              ;   in Loop: Header=BB0_1 Depth=1
	s_add_co_i32 s8, s2, 0xf1
	s_mov_b32 s9, s3
	s_wait_alu 0xfffe
	v_dual_mov_b32 v1, s8 :: v_dual_mov_b32 v2, s9
	global_store_b64 v0, v[1:2], s[6:7] scope:SCOPE_SYS
.LBB0_484:                              ;   Parent Loop BB0_1 Depth=1
                                        ; =>  This Inner Loop Header: Depth=2
	global_load_b64 v[1:2], v0, s[4:5] scope:SCOPE_SYS
	s_wait_loadcnt 0x0
	v_cmp_ne_u64_e32 vcc_lo, s[8:9], v[1:2]
	s_cbranch_vccnz .LBB0_484
; %bb.485:                              ;   in Loop: Header=BB0_1 Depth=1
	s_add_co_i32 s8, s2, 0xf2
	s_mov_b32 s9, s3
	s_wait_alu 0xfffe
	v_dual_mov_b32 v1, s8 :: v_dual_mov_b32 v2, s9
	global_store_b64 v0, v[1:2], s[6:7] scope:SCOPE_SYS
.LBB0_486:                              ;   Parent Loop BB0_1 Depth=1
                                        ; =>  This Inner Loop Header: Depth=2
	global_load_b64 v[1:2], v0, s[4:5] scope:SCOPE_SYS
	s_wait_loadcnt 0x0
	v_cmp_ne_u64_e32 vcc_lo, s[8:9], v[1:2]
	s_cbranch_vccnz .LBB0_486
; %bb.487:                              ;   in Loop: Header=BB0_1 Depth=1
	s_add_co_i32 s8, s2, 0xf3
	s_mov_b32 s9, s3
	s_wait_alu 0xfffe
	v_dual_mov_b32 v1, s8 :: v_dual_mov_b32 v2, s9
	global_store_b64 v0, v[1:2], s[6:7] scope:SCOPE_SYS
.LBB0_488:                              ;   Parent Loop BB0_1 Depth=1
                                        ; =>  This Inner Loop Header: Depth=2
	global_load_b64 v[1:2], v0, s[4:5] scope:SCOPE_SYS
	s_wait_loadcnt 0x0
	v_cmp_ne_u64_e32 vcc_lo, s[8:9], v[1:2]
	s_cbranch_vccnz .LBB0_488
; %bb.489:                              ;   in Loop: Header=BB0_1 Depth=1
	s_add_co_i32 s8, s2, 0xf4
	s_mov_b32 s9, s3
	s_wait_alu 0xfffe
	v_dual_mov_b32 v1, s8 :: v_dual_mov_b32 v2, s9
	global_store_b64 v0, v[1:2], s[6:7] scope:SCOPE_SYS
.LBB0_490:                              ;   Parent Loop BB0_1 Depth=1
                                        ; =>  This Inner Loop Header: Depth=2
	global_load_b64 v[1:2], v0, s[4:5] scope:SCOPE_SYS
	s_wait_loadcnt 0x0
	v_cmp_ne_u64_e32 vcc_lo, s[8:9], v[1:2]
	s_cbranch_vccnz .LBB0_490
; %bb.491:                              ;   in Loop: Header=BB0_1 Depth=1
	s_add_co_i32 s8, s2, 0xf5
	s_mov_b32 s9, s3
	s_wait_alu 0xfffe
	v_dual_mov_b32 v1, s8 :: v_dual_mov_b32 v2, s9
	global_store_b64 v0, v[1:2], s[6:7] scope:SCOPE_SYS
.LBB0_492:                              ;   Parent Loop BB0_1 Depth=1
                                        ; =>  This Inner Loop Header: Depth=2
	global_load_b64 v[1:2], v0, s[4:5] scope:SCOPE_SYS
	s_wait_loadcnt 0x0
	v_cmp_ne_u64_e32 vcc_lo, s[8:9], v[1:2]
	s_cbranch_vccnz .LBB0_492
; %bb.493:                              ;   in Loop: Header=BB0_1 Depth=1
	s_add_co_i32 s8, s2, 0xf6
	s_mov_b32 s9, s3
	s_wait_alu 0xfffe
	v_dual_mov_b32 v1, s8 :: v_dual_mov_b32 v2, s9
	global_store_b64 v0, v[1:2], s[6:7] scope:SCOPE_SYS
.LBB0_494:                              ;   Parent Loop BB0_1 Depth=1
                                        ; =>  This Inner Loop Header: Depth=2
	global_load_b64 v[1:2], v0, s[4:5] scope:SCOPE_SYS
	s_wait_loadcnt 0x0
	v_cmp_ne_u64_e32 vcc_lo, s[8:9], v[1:2]
	s_cbranch_vccnz .LBB0_494
; %bb.495:                              ;   in Loop: Header=BB0_1 Depth=1
	s_add_co_i32 s8, s2, 0xf7
	s_mov_b32 s9, s3
	s_wait_alu 0xfffe
	v_dual_mov_b32 v1, s8 :: v_dual_mov_b32 v2, s9
	global_store_b64 v0, v[1:2], s[6:7] scope:SCOPE_SYS
.LBB0_496:                              ;   Parent Loop BB0_1 Depth=1
                                        ; =>  This Inner Loop Header: Depth=2
	global_load_b64 v[1:2], v0, s[4:5] scope:SCOPE_SYS
	s_wait_loadcnt 0x0
	v_cmp_ne_u64_e32 vcc_lo, s[8:9], v[1:2]
	s_cbranch_vccnz .LBB0_496
; %bb.497:                              ;   in Loop: Header=BB0_1 Depth=1
	s_add_co_i32 s8, s2, 0xf8
	s_mov_b32 s9, s3
	s_wait_alu 0xfffe
	v_dual_mov_b32 v1, s8 :: v_dual_mov_b32 v2, s9
	global_store_b64 v0, v[1:2], s[6:7] scope:SCOPE_SYS
.LBB0_498:                              ;   Parent Loop BB0_1 Depth=1
                                        ; =>  This Inner Loop Header: Depth=2
	global_load_b64 v[1:2], v0, s[4:5] scope:SCOPE_SYS
	s_wait_loadcnt 0x0
	v_cmp_ne_u64_e32 vcc_lo, s[8:9], v[1:2]
	s_cbranch_vccnz .LBB0_498
; %bb.499:                              ;   in Loop: Header=BB0_1 Depth=1
	s_add_co_i32 s8, s2, 0xf9
	s_mov_b32 s9, s3
	s_wait_alu 0xfffe
	v_dual_mov_b32 v1, s8 :: v_dual_mov_b32 v2, s9
	global_store_b64 v0, v[1:2], s[6:7] scope:SCOPE_SYS
.LBB0_500:                              ;   Parent Loop BB0_1 Depth=1
                                        ; =>  This Inner Loop Header: Depth=2
	global_load_b64 v[1:2], v0, s[4:5] scope:SCOPE_SYS
	s_wait_loadcnt 0x0
	v_cmp_ne_u64_e32 vcc_lo, s[8:9], v[1:2]
	s_cbranch_vccnz .LBB0_500
; %bb.501:                              ;   in Loop: Header=BB0_1 Depth=1
	s_add_co_i32 s8, s2, 0xfa
	s_mov_b32 s9, s3
	s_wait_alu 0xfffe
	v_dual_mov_b32 v1, s8 :: v_dual_mov_b32 v2, s9
	global_store_b64 v0, v[1:2], s[6:7] scope:SCOPE_SYS
.LBB0_502:                              ;   Parent Loop BB0_1 Depth=1
                                        ; =>  This Inner Loop Header: Depth=2
	global_load_b64 v[1:2], v0, s[4:5] scope:SCOPE_SYS
	s_wait_loadcnt 0x0
	v_cmp_ne_u64_e32 vcc_lo, s[8:9], v[1:2]
	s_cbranch_vccnz .LBB0_502
; %bb.503:                              ;   in Loop: Header=BB0_1 Depth=1
	s_add_co_i32 s8, s2, 0xfb
	s_mov_b32 s9, s3
	s_wait_alu 0xfffe
	v_dual_mov_b32 v1, s8 :: v_dual_mov_b32 v2, s9
	global_store_b64 v0, v[1:2], s[6:7] scope:SCOPE_SYS
.LBB0_504:                              ;   Parent Loop BB0_1 Depth=1
                                        ; =>  This Inner Loop Header: Depth=2
	global_load_b64 v[1:2], v0, s[4:5] scope:SCOPE_SYS
	s_wait_loadcnt 0x0
	v_cmp_ne_u64_e32 vcc_lo, s[8:9], v[1:2]
	s_cbranch_vccnz .LBB0_504
; %bb.505:                              ;   in Loop: Header=BB0_1 Depth=1
	s_add_co_i32 s8, s2, 0xfc
	s_mov_b32 s9, s3
	s_wait_alu 0xfffe
	v_dual_mov_b32 v1, s8 :: v_dual_mov_b32 v2, s9
	global_store_b64 v0, v[1:2], s[6:7] scope:SCOPE_SYS
.LBB0_506:                              ;   Parent Loop BB0_1 Depth=1
                                        ; =>  This Inner Loop Header: Depth=2
	global_load_b64 v[1:2], v0, s[4:5] scope:SCOPE_SYS
	s_wait_loadcnt 0x0
	v_cmp_ne_u64_e32 vcc_lo, s[8:9], v[1:2]
	s_cbranch_vccnz .LBB0_506
; %bb.507:                              ;   in Loop: Header=BB0_1 Depth=1
	s_add_co_i32 s8, s2, 0xfd
	s_mov_b32 s9, s3
	s_wait_alu 0xfffe
	v_dual_mov_b32 v1, s8 :: v_dual_mov_b32 v2, s9
	global_store_b64 v0, v[1:2], s[6:7] scope:SCOPE_SYS
.LBB0_508:                              ;   Parent Loop BB0_1 Depth=1
                                        ; =>  This Inner Loop Header: Depth=2
	global_load_b64 v[1:2], v0, s[4:5] scope:SCOPE_SYS
	s_wait_loadcnt 0x0
	v_cmp_ne_u64_e32 vcc_lo, s[8:9], v[1:2]
	s_cbranch_vccnz .LBB0_508
; %bb.509:                              ;   in Loop: Header=BB0_1 Depth=1
	s_add_co_i32 s8, s2, 0xfe
	s_mov_b32 s9, s3
	s_wait_alu 0xfffe
	v_dual_mov_b32 v1, s8 :: v_dual_mov_b32 v2, s9
	global_store_b64 v0, v[1:2], s[6:7] scope:SCOPE_SYS
.LBB0_510:                              ;   Parent Loop BB0_1 Depth=1
                                        ; =>  This Inner Loop Header: Depth=2
	global_load_b64 v[1:2], v0, s[4:5] scope:SCOPE_SYS
	s_wait_loadcnt 0x0
	v_cmp_ne_u64_e32 vcc_lo, s[8:9], v[1:2]
	s_cbranch_vccnz .LBB0_510
; %bb.511:                              ;   in Loop: Header=BB0_1 Depth=1
	s_add_co_i32 s8, s2, 0xff
	s_mov_b32 s9, s3
	s_wait_alu 0xfffe
	v_dual_mov_b32 v1, s8 :: v_dual_mov_b32 v2, s9
	global_store_b64 v0, v[1:2], s[6:7] scope:SCOPE_SYS
.LBB0_512:                              ;   Parent Loop BB0_1 Depth=1
                                        ; =>  This Inner Loop Header: Depth=2
	global_load_b64 v[1:2], v0, s[4:5] scope:SCOPE_SYS
	s_wait_loadcnt 0x0
	v_cmp_ne_u64_e32 vcc_lo, s[8:9], v[1:2]
	s_cbranch_vccnz .LBB0_512
; %bb.513:                              ;   in Loop: Header=BB0_1 Depth=1
	s_add_co_i32 s8, s2, 0x100
	s_mov_b32 s9, s3
	s_wait_alu 0xfffe
	v_dual_mov_b32 v1, s8 :: v_dual_mov_b32 v2, s9
	global_store_b64 v0, v[1:2], s[6:7] scope:SCOPE_SYS
.LBB0_514:                              ;   Parent Loop BB0_1 Depth=1
                                        ; =>  This Inner Loop Header: Depth=2
	global_load_b64 v[1:2], v0, s[4:5] scope:SCOPE_SYS
	s_wait_loadcnt 0x0
	v_cmp_ne_u64_e32 vcc_lo, s[8:9], v[1:2]
	s_cbranch_vccnz .LBB0_514
; %bb.515:                              ;   in Loop: Header=BB0_1 Depth=1
	s_add_co_i32 s8, s2, 0x101
	s_mov_b32 s9, s3
	s_wait_alu 0xfffe
	v_dual_mov_b32 v1, s8 :: v_dual_mov_b32 v2, s9
	global_store_b64 v0, v[1:2], s[6:7] scope:SCOPE_SYS
.LBB0_516:                              ;   Parent Loop BB0_1 Depth=1
                                        ; =>  This Inner Loop Header: Depth=2
	global_load_b64 v[1:2], v0, s[4:5] scope:SCOPE_SYS
	s_wait_loadcnt 0x0
	v_cmp_ne_u64_e32 vcc_lo, s[8:9], v[1:2]
	s_cbranch_vccnz .LBB0_516
; %bb.517:                              ;   in Loop: Header=BB0_1 Depth=1
	s_add_co_i32 s8, s2, 0x102
	s_mov_b32 s9, s3
	s_wait_alu 0xfffe
	v_dual_mov_b32 v1, s8 :: v_dual_mov_b32 v2, s9
	global_store_b64 v0, v[1:2], s[6:7] scope:SCOPE_SYS
.LBB0_518:                              ;   Parent Loop BB0_1 Depth=1
                                        ; =>  This Inner Loop Header: Depth=2
	global_load_b64 v[1:2], v0, s[4:5] scope:SCOPE_SYS
	s_wait_loadcnt 0x0
	v_cmp_ne_u64_e32 vcc_lo, s[8:9], v[1:2]
	s_cbranch_vccnz .LBB0_518
; %bb.519:                              ;   in Loop: Header=BB0_1 Depth=1
	s_add_co_i32 s8, s2, 0x103
	s_mov_b32 s9, s3
	s_wait_alu 0xfffe
	v_dual_mov_b32 v1, s8 :: v_dual_mov_b32 v2, s9
	global_store_b64 v0, v[1:2], s[6:7] scope:SCOPE_SYS
.LBB0_520:                              ;   Parent Loop BB0_1 Depth=1
                                        ; =>  This Inner Loop Header: Depth=2
	global_load_b64 v[1:2], v0, s[4:5] scope:SCOPE_SYS
	s_wait_loadcnt 0x0
	v_cmp_ne_u64_e32 vcc_lo, s[8:9], v[1:2]
	s_cbranch_vccnz .LBB0_520
; %bb.521:                              ;   in Loop: Header=BB0_1 Depth=1
	s_add_co_i32 s8, s2, 0x104
	s_mov_b32 s9, s3
	s_wait_alu 0xfffe
	v_dual_mov_b32 v1, s8 :: v_dual_mov_b32 v2, s9
	global_store_b64 v0, v[1:2], s[6:7] scope:SCOPE_SYS
.LBB0_522:                              ;   Parent Loop BB0_1 Depth=1
                                        ; =>  This Inner Loop Header: Depth=2
	global_load_b64 v[1:2], v0, s[4:5] scope:SCOPE_SYS
	s_wait_loadcnt 0x0
	v_cmp_ne_u64_e32 vcc_lo, s[8:9], v[1:2]
	s_cbranch_vccnz .LBB0_522
; %bb.523:                              ;   in Loop: Header=BB0_1 Depth=1
	s_add_co_i32 s8, s2, 0x105
	s_mov_b32 s9, s3
	s_wait_alu 0xfffe
	v_dual_mov_b32 v1, s8 :: v_dual_mov_b32 v2, s9
	global_store_b64 v0, v[1:2], s[6:7] scope:SCOPE_SYS
.LBB0_524:                              ;   Parent Loop BB0_1 Depth=1
                                        ; =>  This Inner Loop Header: Depth=2
	global_load_b64 v[1:2], v0, s[4:5] scope:SCOPE_SYS
	s_wait_loadcnt 0x0
	v_cmp_ne_u64_e32 vcc_lo, s[8:9], v[1:2]
	s_cbranch_vccnz .LBB0_524
; %bb.525:                              ;   in Loop: Header=BB0_1 Depth=1
	s_add_co_i32 s8, s2, 0x106
	s_mov_b32 s9, s3
	s_wait_alu 0xfffe
	v_dual_mov_b32 v1, s8 :: v_dual_mov_b32 v2, s9
	global_store_b64 v0, v[1:2], s[6:7] scope:SCOPE_SYS
.LBB0_526:                              ;   Parent Loop BB0_1 Depth=1
                                        ; =>  This Inner Loop Header: Depth=2
	global_load_b64 v[1:2], v0, s[4:5] scope:SCOPE_SYS
	s_wait_loadcnt 0x0
	v_cmp_ne_u64_e32 vcc_lo, s[8:9], v[1:2]
	s_cbranch_vccnz .LBB0_526
; %bb.527:                              ;   in Loop: Header=BB0_1 Depth=1
	s_add_co_i32 s8, s2, 0x107
	s_mov_b32 s9, s3
	s_wait_alu 0xfffe
	v_dual_mov_b32 v1, s8 :: v_dual_mov_b32 v2, s9
	global_store_b64 v0, v[1:2], s[6:7] scope:SCOPE_SYS
.LBB0_528:                              ;   Parent Loop BB0_1 Depth=1
                                        ; =>  This Inner Loop Header: Depth=2
	global_load_b64 v[1:2], v0, s[4:5] scope:SCOPE_SYS
	s_wait_loadcnt 0x0
	v_cmp_ne_u64_e32 vcc_lo, s[8:9], v[1:2]
	s_cbranch_vccnz .LBB0_528
; %bb.529:                              ;   in Loop: Header=BB0_1 Depth=1
	s_add_co_i32 s8, s2, 0x108
	s_mov_b32 s9, s3
	s_wait_alu 0xfffe
	v_dual_mov_b32 v1, s8 :: v_dual_mov_b32 v2, s9
	global_store_b64 v0, v[1:2], s[6:7] scope:SCOPE_SYS
.LBB0_530:                              ;   Parent Loop BB0_1 Depth=1
                                        ; =>  This Inner Loop Header: Depth=2
	global_load_b64 v[1:2], v0, s[4:5] scope:SCOPE_SYS
	s_wait_loadcnt 0x0
	v_cmp_ne_u64_e32 vcc_lo, s[8:9], v[1:2]
	s_cbranch_vccnz .LBB0_530
; %bb.531:                              ;   in Loop: Header=BB0_1 Depth=1
	s_add_co_i32 s8, s2, 0x109
	s_mov_b32 s9, s3
	s_wait_alu 0xfffe
	v_dual_mov_b32 v1, s8 :: v_dual_mov_b32 v2, s9
	global_store_b64 v0, v[1:2], s[6:7] scope:SCOPE_SYS
.LBB0_532:                              ;   Parent Loop BB0_1 Depth=1
                                        ; =>  This Inner Loop Header: Depth=2
	global_load_b64 v[1:2], v0, s[4:5] scope:SCOPE_SYS
	s_wait_loadcnt 0x0
	v_cmp_ne_u64_e32 vcc_lo, s[8:9], v[1:2]
	s_cbranch_vccnz .LBB0_532
; %bb.533:                              ;   in Loop: Header=BB0_1 Depth=1
	s_add_co_i32 s8, s2, 0x10a
	s_mov_b32 s9, s3
	s_wait_alu 0xfffe
	v_dual_mov_b32 v1, s8 :: v_dual_mov_b32 v2, s9
	global_store_b64 v0, v[1:2], s[6:7] scope:SCOPE_SYS
.LBB0_534:                              ;   Parent Loop BB0_1 Depth=1
                                        ; =>  This Inner Loop Header: Depth=2
	global_load_b64 v[1:2], v0, s[4:5] scope:SCOPE_SYS
	s_wait_loadcnt 0x0
	v_cmp_ne_u64_e32 vcc_lo, s[8:9], v[1:2]
	s_cbranch_vccnz .LBB0_534
; %bb.535:                              ;   in Loop: Header=BB0_1 Depth=1
	s_add_co_i32 s8, s2, 0x10b
	s_mov_b32 s9, s3
	s_wait_alu 0xfffe
	v_dual_mov_b32 v1, s8 :: v_dual_mov_b32 v2, s9
	global_store_b64 v0, v[1:2], s[6:7] scope:SCOPE_SYS
.LBB0_536:                              ;   Parent Loop BB0_1 Depth=1
                                        ; =>  This Inner Loop Header: Depth=2
	global_load_b64 v[1:2], v0, s[4:5] scope:SCOPE_SYS
	s_wait_loadcnt 0x0
	v_cmp_ne_u64_e32 vcc_lo, s[8:9], v[1:2]
	s_cbranch_vccnz .LBB0_536
; %bb.537:                              ;   in Loop: Header=BB0_1 Depth=1
	s_add_co_i32 s8, s2, 0x10c
	s_mov_b32 s9, s3
	s_wait_alu 0xfffe
	v_dual_mov_b32 v1, s8 :: v_dual_mov_b32 v2, s9
	global_store_b64 v0, v[1:2], s[6:7] scope:SCOPE_SYS
.LBB0_538:                              ;   Parent Loop BB0_1 Depth=1
                                        ; =>  This Inner Loop Header: Depth=2
	global_load_b64 v[1:2], v0, s[4:5] scope:SCOPE_SYS
	s_wait_loadcnt 0x0
	v_cmp_ne_u64_e32 vcc_lo, s[8:9], v[1:2]
	s_cbranch_vccnz .LBB0_538
; %bb.539:                              ;   in Loop: Header=BB0_1 Depth=1
	s_add_co_i32 s8, s2, 0x10d
	s_mov_b32 s9, s3
	s_wait_alu 0xfffe
	v_dual_mov_b32 v1, s8 :: v_dual_mov_b32 v2, s9
	global_store_b64 v0, v[1:2], s[6:7] scope:SCOPE_SYS
.LBB0_540:                              ;   Parent Loop BB0_1 Depth=1
                                        ; =>  This Inner Loop Header: Depth=2
	global_load_b64 v[1:2], v0, s[4:5] scope:SCOPE_SYS
	s_wait_loadcnt 0x0
	v_cmp_ne_u64_e32 vcc_lo, s[8:9], v[1:2]
	s_cbranch_vccnz .LBB0_540
; %bb.541:                              ;   in Loop: Header=BB0_1 Depth=1
	s_add_co_i32 s8, s2, 0x10e
	s_mov_b32 s9, s3
	s_wait_alu 0xfffe
	v_dual_mov_b32 v1, s8 :: v_dual_mov_b32 v2, s9
	global_store_b64 v0, v[1:2], s[6:7] scope:SCOPE_SYS
.LBB0_542:                              ;   Parent Loop BB0_1 Depth=1
                                        ; =>  This Inner Loop Header: Depth=2
	global_load_b64 v[1:2], v0, s[4:5] scope:SCOPE_SYS
	s_wait_loadcnt 0x0
	v_cmp_ne_u64_e32 vcc_lo, s[8:9], v[1:2]
	s_cbranch_vccnz .LBB0_542
; %bb.543:                              ;   in Loop: Header=BB0_1 Depth=1
	s_add_co_i32 s8, s2, 0x10f
	s_mov_b32 s9, s3
	s_wait_alu 0xfffe
	v_dual_mov_b32 v1, s8 :: v_dual_mov_b32 v2, s9
	global_store_b64 v0, v[1:2], s[6:7] scope:SCOPE_SYS
.LBB0_544:                              ;   Parent Loop BB0_1 Depth=1
                                        ; =>  This Inner Loop Header: Depth=2
	global_load_b64 v[1:2], v0, s[4:5] scope:SCOPE_SYS
	s_wait_loadcnt 0x0
	v_cmp_ne_u64_e32 vcc_lo, s[8:9], v[1:2]
	s_cbranch_vccnz .LBB0_544
; %bb.545:                              ;   in Loop: Header=BB0_1 Depth=1
	s_add_co_i32 s8, s2, 0x110
	s_mov_b32 s9, s3
	s_wait_alu 0xfffe
	v_dual_mov_b32 v1, s8 :: v_dual_mov_b32 v2, s9
	global_store_b64 v0, v[1:2], s[6:7] scope:SCOPE_SYS
.LBB0_546:                              ;   Parent Loop BB0_1 Depth=1
                                        ; =>  This Inner Loop Header: Depth=2
	global_load_b64 v[1:2], v0, s[4:5] scope:SCOPE_SYS
	s_wait_loadcnt 0x0
	v_cmp_ne_u64_e32 vcc_lo, s[8:9], v[1:2]
	s_cbranch_vccnz .LBB0_546
; %bb.547:                              ;   in Loop: Header=BB0_1 Depth=1
	s_add_co_i32 s8, s2, 0x111
	s_mov_b32 s9, s3
	s_wait_alu 0xfffe
	v_dual_mov_b32 v1, s8 :: v_dual_mov_b32 v2, s9
	global_store_b64 v0, v[1:2], s[6:7] scope:SCOPE_SYS
.LBB0_548:                              ;   Parent Loop BB0_1 Depth=1
                                        ; =>  This Inner Loop Header: Depth=2
	global_load_b64 v[1:2], v0, s[4:5] scope:SCOPE_SYS
	s_wait_loadcnt 0x0
	v_cmp_ne_u64_e32 vcc_lo, s[8:9], v[1:2]
	s_cbranch_vccnz .LBB0_548
; %bb.549:                              ;   in Loop: Header=BB0_1 Depth=1
	s_add_co_i32 s8, s2, 0x112
	s_mov_b32 s9, s3
	s_wait_alu 0xfffe
	v_dual_mov_b32 v1, s8 :: v_dual_mov_b32 v2, s9
	global_store_b64 v0, v[1:2], s[6:7] scope:SCOPE_SYS
.LBB0_550:                              ;   Parent Loop BB0_1 Depth=1
                                        ; =>  This Inner Loop Header: Depth=2
	global_load_b64 v[1:2], v0, s[4:5] scope:SCOPE_SYS
	s_wait_loadcnt 0x0
	v_cmp_ne_u64_e32 vcc_lo, s[8:9], v[1:2]
	s_cbranch_vccnz .LBB0_550
; %bb.551:                              ;   in Loop: Header=BB0_1 Depth=1
	s_add_co_i32 s8, s2, 0x113
	s_mov_b32 s9, s3
	s_wait_alu 0xfffe
	v_dual_mov_b32 v1, s8 :: v_dual_mov_b32 v2, s9
	global_store_b64 v0, v[1:2], s[6:7] scope:SCOPE_SYS
.LBB0_552:                              ;   Parent Loop BB0_1 Depth=1
                                        ; =>  This Inner Loop Header: Depth=2
	global_load_b64 v[1:2], v0, s[4:5] scope:SCOPE_SYS
	s_wait_loadcnt 0x0
	v_cmp_ne_u64_e32 vcc_lo, s[8:9], v[1:2]
	s_cbranch_vccnz .LBB0_552
; %bb.553:                              ;   in Loop: Header=BB0_1 Depth=1
	s_add_co_i32 s8, s2, 0x114
	s_mov_b32 s9, s3
	s_wait_alu 0xfffe
	v_dual_mov_b32 v1, s8 :: v_dual_mov_b32 v2, s9
	global_store_b64 v0, v[1:2], s[6:7] scope:SCOPE_SYS
.LBB0_554:                              ;   Parent Loop BB0_1 Depth=1
                                        ; =>  This Inner Loop Header: Depth=2
	global_load_b64 v[1:2], v0, s[4:5] scope:SCOPE_SYS
	s_wait_loadcnt 0x0
	v_cmp_ne_u64_e32 vcc_lo, s[8:9], v[1:2]
	s_cbranch_vccnz .LBB0_554
; %bb.555:                              ;   in Loop: Header=BB0_1 Depth=1
	s_add_co_i32 s8, s2, 0x115
	s_mov_b32 s9, s3
	s_wait_alu 0xfffe
	v_dual_mov_b32 v1, s8 :: v_dual_mov_b32 v2, s9
	global_store_b64 v0, v[1:2], s[6:7] scope:SCOPE_SYS
.LBB0_556:                              ;   Parent Loop BB0_1 Depth=1
                                        ; =>  This Inner Loop Header: Depth=2
	global_load_b64 v[1:2], v0, s[4:5] scope:SCOPE_SYS
	s_wait_loadcnt 0x0
	v_cmp_ne_u64_e32 vcc_lo, s[8:9], v[1:2]
	s_cbranch_vccnz .LBB0_556
; %bb.557:                              ;   in Loop: Header=BB0_1 Depth=1
	s_add_co_i32 s8, s2, 0x116
	s_mov_b32 s9, s3
	s_wait_alu 0xfffe
	v_dual_mov_b32 v1, s8 :: v_dual_mov_b32 v2, s9
	global_store_b64 v0, v[1:2], s[6:7] scope:SCOPE_SYS
.LBB0_558:                              ;   Parent Loop BB0_1 Depth=1
                                        ; =>  This Inner Loop Header: Depth=2
	global_load_b64 v[1:2], v0, s[4:5] scope:SCOPE_SYS
	s_wait_loadcnt 0x0
	v_cmp_ne_u64_e32 vcc_lo, s[8:9], v[1:2]
	s_cbranch_vccnz .LBB0_558
; %bb.559:                              ;   in Loop: Header=BB0_1 Depth=1
	s_add_co_i32 s8, s2, 0x117
	s_mov_b32 s9, s3
	s_wait_alu 0xfffe
	v_dual_mov_b32 v1, s8 :: v_dual_mov_b32 v2, s9
	global_store_b64 v0, v[1:2], s[6:7] scope:SCOPE_SYS
.LBB0_560:                              ;   Parent Loop BB0_1 Depth=1
                                        ; =>  This Inner Loop Header: Depth=2
	global_load_b64 v[1:2], v0, s[4:5] scope:SCOPE_SYS
	s_wait_loadcnt 0x0
	v_cmp_ne_u64_e32 vcc_lo, s[8:9], v[1:2]
	s_cbranch_vccnz .LBB0_560
; %bb.561:                              ;   in Loop: Header=BB0_1 Depth=1
	s_add_co_i32 s8, s2, 0x118
	s_mov_b32 s9, s3
	s_wait_alu 0xfffe
	v_dual_mov_b32 v1, s8 :: v_dual_mov_b32 v2, s9
	global_store_b64 v0, v[1:2], s[6:7] scope:SCOPE_SYS
.LBB0_562:                              ;   Parent Loop BB0_1 Depth=1
                                        ; =>  This Inner Loop Header: Depth=2
	global_load_b64 v[1:2], v0, s[4:5] scope:SCOPE_SYS
	s_wait_loadcnt 0x0
	v_cmp_ne_u64_e32 vcc_lo, s[8:9], v[1:2]
	s_cbranch_vccnz .LBB0_562
; %bb.563:                              ;   in Loop: Header=BB0_1 Depth=1
	s_add_co_i32 s8, s2, 0x119
	s_mov_b32 s9, s3
	s_wait_alu 0xfffe
	v_dual_mov_b32 v1, s8 :: v_dual_mov_b32 v2, s9
	global_store_b64 v0, v[1:2], s[6:7] scope:SCOPE_SYS
.LBB0_564:                              ;   Parent Loop BB0_1 Depth=1
                                        ; =>  This Inner Loop Header: Depth=2
	global_load_b64 v[1:2], v0, s[4:5] scope:SCOPE_SYS
	s_wait_loadcnt 0x0
	v_cmp_ne_u64_e32 vcc_lo, s[8:9], v[1:2]
	s_cbranch_vccnz .LBB0_564
; %bb.565:                              ;   in Loop: Header=BB0_1 Depth=1
	s_add_co_i32 s8, s2, 0x11a
	s_mov_b32 s9, s3
	s_wait_alu 0xfffe
	v_dual_mov_b32 v1, s8 :: v_dual_mov_b32 v2, s9
	global_store_b64 v0, v[1:2], s[6:7] scope:SCOPE_SYS
.LBB0_566:                              ;   Parent Loop BB0_1 Depth=1
                                        ; =>  This Inner Loop Header: Depth=2
	global_load_b64 v[1:2], v0, s[4:5] scope:SCOPE_SYS
	s_wait_loadcnt 0x0
	v_cmp_ne_u64_e32 vcc_lo, s[8:9], v[1:2]
	s_cbranch_vccnz .LBB0_566
; %bb.567:                              ;   in Loop: Header=BB0_1 Depth=1
	s_add_co_i32 s8, s2, 0x11b
	s_mov_b32 s9, s3
	s_wait_alu 0xfffe
	v_dual_mov_b32 v1, s8 :: v_dual_mov_b32 v2, s9
	global_store_b64 v0, v[1:2], s[6:7] scope:SCOPE_SYS
.LBB0_568:                              ;   Parent Loop BB0_1 Depth=1
                                        ; =>  This Inner Loop Header: Depth=2
	global_load_b64 v[1:2], v0, s[4:5] scope:SCOPE_SYS
	s_wait_loadcnt 0x0
	v_cmp_ne_u64_e32 vcc_lo, s[8:9], v[1:2]
	s_cbranch_vccnz .LBB0_568
; %bb.569:                              ;   in Loop: Header=BB0_1 Depth=1
	s_add_co_i32 s8, s2, 0x11c
	s_mov_b32 s9, s3
	s_wait_alu 0xfffe
	v_dual_mov_b32 v1, s8 :: v_dual_mov_b32 v2, s9
	global_store_b64 v0, v[1:2], s[6:7] scope:SCOPE_SYS
.LBB0_570:                              ;   Parent Loop BB0_1 Depth=1
                                        ; =>  This Inner Loop Header: Depth=2
	global_load_b64 v[1:2], v0, s[4:5] scope:SCOPE_SYS
	s_wait_loadcnt 0x0
	v_cmp_ne_u64_e32 vcc_lo, s[8:9], v[1:2]
	s_cbranch_vccnz .LBB0_570
; %bb.571:                              ;   in Loop: Header=BB0_1 Depth=1
	s_add_co_i32 s8, s2, 0x11d
	s_mov_b32 s9, s3
	s_wait_alu 0xfffe
	v_dual_mov_b32 v1, s8 :: v_dual_mov_b32 v2, s9
	global_store_b64 v0, v[1:2], s[6:7] scope:SCOPE_SYS
.LBB0_572:                              ;   Parent Loop BB0_1 Depth=1
                                        ; =>  This Inner Loop Header: Depth=2
	global_load_b64 v[1:2], v0, s[4:5] scope:SCOPE_SYS
	s_wait_loadcnt 0x0
	v_cmp_ne_u64_e32 vcc_lo, s[8:9], v[1:2]
	s_cbranch_vccnz .LBB0_572
; %bb.573:                              ;   in Loop: Header=BB0_1 Depth=1
	s_add_co_i32 s8, s2, 0x11e
	s_mov_b32 s9, s3
	s_wait_alu 0xfffe
	v_dual_mov_b32 v1, s8 :: v_dual_mov_b32 v2, s9
	global_store_b64 v0, v[1:2], s[6:7] scope:SCOPE_SYS
.LBB0_574:                              ;   Parent Loop BB0_1 Depth=1
                                        ; =>  This Inner Loop Header: Depth=2
	global_load_b64 v[1:2], v0, s[4:5] scope:SCOPE_SYS
	s_wait_loadcnt 0x0
	v_cmp_ne_u64_e32 vcc_lo, s[8:9], v[1:2]
	s_cbranch_vccnz .LBB0_574
; %bb.575:                              ;   in Loop: Header=BB0_1 Depth=1
	s_add_co_i32 s8, s2, 0x11f
	s_mov_b32 s9, s3
	s_wait_alu 0xfffe
	v_dual_mov_b32 v1, s8 :: v_dual_mov_b32 v2, s9
	global_store_b64 v0, v[1:2], s[6:7] scope:SCOPE_SYS
.LBB0_576:                              ;   Parent Loop BB0_1 Depth=1
                                        ; =>  This Inner Loop Header: Depth=2
	global_load_b64 v[1:2], v0, s[4:5] scope:SCOPE_SYS
	s_wait_loadcnt 0x0
	v_cmp_ne_u64_e32 vcc_lo, s[8:9], v[1:2]
	s_cbranch_vccnz .LBB0_576
; %bb.577:                              ;   in Loop: Header=BB0_1 Depth=1
	s_add_co_i32 s8, s2, 0x120
	s_mov_b32 s9, s3
	s_wait_alu 0xfffe
	v_dual_mov_b32 v1, s8 :: v_dual_mov_b32 v2, s9
	global_store_b64 v0, v[1:2], s[6:7] scope:SCOPE_SYS
.LBB0_578:                              ;   Parent Loop BB0_1 Depth=1
                                        ; =>  This Inner Loop Header: Depth=2
	global_load_b64 v[1:2], v0, s[4:5] scope:SCOPE_SYS
	s_wait_loadcnt 0x0
	v_cmp_ne_u64_e32 vcc_lo, s[8:9], v[1:2]
	s_cbranch_vccnz .LBB0_578
; %bb.579:                              ;   in Loop: Header=BB0_1 Depth=1
	s_add_co_i32 s8, s2, 0x121
	s_mov_b32 s9, s3
	s_wait_alu 0xfffe
	v_dual_mov_b32 v1, s8 :: v_dual_mov_b32 v2, s9
	global_store_b64 v0, v[1:2], s[6:7] scope:SCOPE_SYS
.LBB0_580:                              ;   Parent Loop BB0_1 Depth=1
                                        ; =>  This Inner Loop Header: Depth=2
	global_load_b64 v[1:2], v0, s[4:5] scope:SCOPE_SYS
	s_wait_loadcnt 0x0
	v_cmp_ne_u64_e32 vcc_lo, s[8:9], v[1:2]
	s_cbranch_vccnz .LBB0_580
; %bb.581:                              ;   in Loop: Header=BB0_1 Depth=1
	s_add_co_i32 s8, s2, 0x122
	s_mov_b32 s9, s3
	s_wait_alu 0xfffe
	v_dual_mov_b32 v1, s8 :: v_dual_mov_b32 v2, s9
	global_store_b64 v0, v[1:2], s[6:7] scope:SCOPE_SYS
.LBB0_582:                              ;   Parent Loop BB0_1 Depth=1
                                        ; =>  This Inner Loop Header: Depth=2
	global_load_b64 v[1:2], v0, s[4:5] scope:SCOPE_SYS
	s_wait_loadcnt 0x0
	v_cmp_ne_u64_e32 vcc_lo, s[8:9], v[1:2]
	s_cbranch_vccnz .LBB0_582
; %bb.583:                              ;   in Loop: Header=BB0_1 Depth=1
	s_add_co_i32 s8, s2, 0x123
	s_mov_b32 s9, s3
	s_wait_alu 0xfffe
	v_dual_mov_b32 v1, s8 :: v_dual_mov_b32 v2, s9
	global_store_b64 v0, v[1:2], s[6:7] scope:SCOPE_SYS
.LBB0_584:                              ;   Parent Loop BB0_1 Depth=1
                                        ; =>  This Inner Loop Header: Depth=2
	global_load_b64 v[1:2], v0, s[4:5] scope:SCOPE_SYS
	s_wait_loadcnt 0x0
	v_cmp_ne_u64_e32 vcc_lo, s[8:9], v[1:2]
	s_cbranch_vccnz .LBB0_584
; %bb.585:                              ;   in Loop: Header=BB0_1 Depth=1
	s_add_co_i32 s8, s2, 0x124
	s_mov_b32 s9, s3
	s_wait_alu 0xfffe
	v_dual_mov_b32 v1, s8 :: v_dual_mov_b32 v2, s9
	global_store_b64 v0, v[1:2], s[6:7] scope:SCOPE_SYS
.LBB0_586:                              ;   Parent Loop BB0_1 Depth=1
                                        ; =>  This Inner Loop Header: Depth=2
	global_load_b64 v[1:2], v0, s[4:5] scope:SCOPE_SYS
	s_wait_loadcnt 0x0
	v_cmp_ne_u64_e32 vcc_lo, s[8:9], v[1:2]
	s_cbranch_vccnz .LBB0_586
; %bb.587:                              ;   in Loop: Header=BB0_1 Depth=1
	s_add_co_i32 s8, s2, 0x125
	s_mov_b32 s9, s3
	s_wait_alu 0xfffe
	v_dual_mov_b32 v1, s8 :: v_dual_mov_b32 v2, s9
	global_store_b64 v0, v[1:2], s[6:7] scope:SCOPE_SYS
.LBB0_588:                              ;   Parent Loop BB0_1 Depth=1
                                        ; =>  This Inner Loop Header: Depth=2
	global_load_b64 v[1:2], v0, s[4:5] scope:SCOPE_SYS
	s_wait_loadcnt 0x0
	v_cmp_ne_u64_e32 vcc_lo, s[8:9], v[1:2]
	s_cbranch_vccnz .LBB0_588
; %bb.589:                              ;   in Loop: Header=BB0_1 Depth=1
	s_add_co_i32 s8, s2, 0x126
	s_mov_b32 s9, s3
	s_wait_alu 0xfffe
	v_dual_mov_b32 v1, s8 :: v_dual_mov_b32 v2, s9
	global_store_b64 v0, v[1:2], s[6:7] scope:SCOPE_SYS
.LBB0_590:                              ;   Parent Loop BB0_1 Depth=1
                                        ; =>  This Inner Loop Header: Depth=2
	global_load_b64 v[1:2], v0, s[4:5] scope:SCOPE_SYS
	s_wait_loadcnt 0x0
	v_cmp_ne_u64_e32 vcc_lo, s[8:9], v[1:2]
	s_cbranch_vccnz .LBB0_590
; %bb.591:                              ;   in Loop: Header=BB0_1 Depth=1
	s_add_co_i32 s8, s2, 0x127
	s_mov_b32 s9, s3
	s_wait_alu 0xfffe
	v_dual_mov_b32 v1, s8 :: v_dual_mov_b32 v2, s9
	global_store_b64 v0, v[1:2], s[6:7] scope:SCOPE_SYS
.LBB0_592:                              ;   Parent Loop BB0_1 Depth=1
                                        ; =>  This Inner Loop Header: Depth=2
	global_load_b64 v[1:2], v0, s[4:5] scope:SCOPE_SYS
	s_wait_loadcnt 0x0
	v_cmp_ne_u64_e32 vcc_lo, s[8:9], v[1:2]
	s_cbranch_vccnz .LBB0_592
; %bb.593:                              ;   in Loop: Header=BB0_1 Depth=1
	s_add_co_i32 s8, s2, 0x128
	s_mov_b32 s9, s3
	s_wait_alu 0xfffe
	v_dual_mov_b32 v1, s8 :: v_dual_mov_b32 v2, s9
	global_store_b64 v0, v[1:2], s[6:7] scope:SCOPE_SYS
.LBB0_594:                              ;   Parent Loop BB0_1 Depth=1
                                        ; =>  This Inner Loop Header: Depth=2
	global_load_b64 v[1:2], v0, s[4:5] scope:SCOPE_SYS
	s_wait_loadcnt 0x0
	v_cmp_ne_u64_e32 vcc_lo, s[8:9], v[1:2]
	s_cbranch_vccnz .LBB0_594
; %bb.595:                              ;   in Loop: Header=BB0_1 Depth=1
	s_add_co_i32 s8, s2, 0x129
	s_mov_b32 s9, s3
	s_wait_alu 0xfffe
	v_dual_mov_b32 v1, s8 :: v_dual_mov_b32 v2, s9
	global_store_b64 v0, v[1:2], s[6:7] scope:SCOPE_SYS
.LBB0_596:                              ;   Parent Loop BB0_1 Depth=1
                                        ; =>  This Inner Loop Header: Depth=2
	global_load_b64 v[1:2], v0, s[4:5] scope:SCOPE_SYS
	s_wait_loadcnt 0x0
	v_cmp_ne_u64_e32 vcc_lo, s[8:9], v[1:2]
	s_cbranch_vccnz .LBB0_596
; %bb.597:                              ;   in Loop: Header=BB0_1 Depth=1
	s_add_co_i32 s8, s2, 0x12a
	s_mov_b32 s9, s3
	s_wait_alu 0xfffe
	v_dual_mov_b32 v1, s8 :: v_dual_mov_b32 v2, s9
	global_store_b64 v0, v[1:2], s[6:7] scope:SCOPE_SYS
.LBB0_598:                              ;   Parent Loop BB0_1 Depth=1
                                        ; =>  This Inner Loop Header: Depth=2
	global_load_b64 v[1:2], v0, s[4:5] scope:SCOPE_SYS
	s_wait_loadcnt 0x0
	v_cmp_ne_u64_e32 vcc_lo, s[8:9], v[1:2]
	s_cbranch_vccnz .LBB0_598
; %bb.599:                              ;   in Loop: Header=BB0_1 Depth=1
	s_add_co_i32 s8, s2, 0x12b
	s_mov_b32 s9, s3
	s_wait_alu 0xfffe
	v_dual_mov_b32 v1, s8 :: v_dual_mov_b32 v2, s9
	global_store_b64 v0, v[1:2], s[6:7] scope:SCOPE_SYS
.LBB0_600:                              ;   Parent Loop BB0_1 Depth=1
                                        ; =>  This Inner Loop Header: Depth=2
	global_load_b64 v[1:2], v0, s[4:5] scope:SCOPE_SYS
	s_wait_loadcnt 0x0
	v_cmp_ne_u64_e32 vcc_lo, s[8:9], v[1:2]
	s_cbranch_vccnz .LBB0_600
; %bb.601:                              ;   in Loop: Header=BB0_1 Depth=1
	s_add_co_i32 s8, s2, 0x12c
	s_mov_b32 s9, s3
	s_wait_alu 0xfffe
	v_dual_mov_b32 v1, s8 :: v_dual_mov_b32 v2, s9
	global_store_b64 v0, v[1:2], s[6:7] scope:SCOPE_SYS
.LBB0_602:                              ;   Parent Loop BB0_1 Depth=1
                                        ; =>  This Inner Loop Header: Depth=2
	global_load_b64 v[1:2], v0, s[4:5] scope:SCOPE_SYS
	s_wait_loadcnt 0x0
	v_cmp_ne_u64_e32 vcc_lo, s[8:9], v[1:2]
	s_cbranch_vccnz .LBB0_602
; %bb.603:                              ;   in Loop: Header=BB0_1 Depth=1
	s_add_co_i32 s8, s2, 0x12d
	s_mov_b32 s9, s3
	s_wait_alu 0xfffe
	v_dual_mov_b32 v1, s8 :: v_dual_mov_b32 v2, s9
	global_store_b64 v0, v[1:2], s[6:7] scope:SCOPE_SYS
.LBB0_604:                              ;   Parent Loop BB0_1 Depth=1
                                        ; =>  This Inner Loop Header: Depth=2
	global_load_b64 v[1:2], v0, s[4:5] scope:SCOPE_SYS
	s_wait_loadcnt 0x0
	v_cmp_ne_u64_e32 vcc_lo, s[8:9], v[1:2]
	s_cbranch_vccnz .LBB0_604
; %bb.605:                              ;   in Loop: Header=BB0_1 Depth=1
	s_add_co_i32 s8, s2, 0x12e
	s_mov_b32 s9, s3
	s_wait_alu 0xfffe
	v_dual_mov_b32 v1, s8 :: v_dual_mov_b32 v2, s9
	global_store_b64 v0, v[1:2], s[6:7] scope:SCOPE_SYS
.LBB0_606:                              ;   Parent Loop BB0_1 Depth=1
                                        ; =>  This Inner Loop Header: Depth=2
	global_load_b64 v[1:2], v0, s[4:5] scope:SCOPE_SYS
	s_wait_loadcnt 0x0
	v_cmp_ne_u64_e32 vcc_lo, s[8:9], v[1:2]
	s_cbranch_vccnz .LBB0_606
; %bb.607:                              ;   in Loop: Header=BB0_1 Depth=1
	s_add_co_i32 s8, s2, 0x12f
	s_mov_b32 s9, s3
	s_wait_alu 0xfffe
	v_dual_mov_b32 v1, s8 :: v_dual_mov_b32 v2, s9
	global_store_b64 v0, v[1:2], s[6:7] scope:SCOPE_SYS
.LBB0_608:                              ;   Parent Loop BB0_1 Depth=1
                                        ; =>  This Inner Loop Header: Depth=2
	global_load_b64 v[1:2], v0, s[4:5] scope:SCOPE_SYS
	s_wait_loadcnt 0x0
	v_cmp_ne_u64_e32 vcc_lo, s[8:9], v[1:2]
	s_cbranch_vccnz .LBB0_608
; %bb.609:                              ;   in Loop: Header=BB0_1 Depth=1
	s_add_co_i32 s8, s2, 0x130
	s_mov_b32 s9, s3
	s_wait_alu 0xfffe
	v_dual_mov_b32 v1, s8 :: v_dual_mov_b32 v2, s9
	global_store_b64 v0, v[1:2], s[6:7] scope:SCOPE_SYS
.LBB0_610:                              ;   Parent Loop BB0_1 Depth=1
                                        ; =>  This Inner Loop Header: Depth=2
	global_load_b64 v[1:2], v0, s[4:5] scope:SCOPE_SYS
	s_wait_loadcnt 0x0
	v_cmp_ne_u64_e32 vcc_lo, s[8:9], v[1:2]
	s_cbranch_vccnz .LBB0_610
; %bb.611:                              ;   in Loop: Header=BB0_1 Depth=1
	s_add_co_i32 s8, s2, 0x131
	s_mov_b32 s9, s3
	s_wait_alu 0xfffe
	v_dual_mov_b32 v1, s8 :: v_dual_mov_b32 v2, s9
	global_store_b64 v0, v[1:2], s[6:7] scope:SCOPE_SYS
.LBB0_612:                              ;   Parent Loop BB0_1 Depth=1
                                        ; =>  This Inner Loop Header: Depth=2
	global_load_b64 v[1:2], v0, s[4:5] scope:SCOPE_SYS
	s_wait_loadcnt 0x0
	v_cmp_ne_u64_e32 vcc_lo, s[8:9], v[1:2]
	s_cbranch_vccnz .LBB0_612
; %bb.613:                              ;   in Loop: Header=BB0_1 Depth=1
	s_add_co_i32 s8, s2, 0x132
	s_mov_b32 s9, s3
	s_wait_alu 0xfffe
	v_dual_mov_b32 v1, s8 :: v_dual_mov_b32 v2, s9
	global_store_b64 v0, v[1:2], s[6:7] scope:SCOPE_SYS
.LBB0_614:                              ;   Parent Loop BB0_1 Depth=1
                                        ; =>  This Inner Loop Header: Depth=2
	global_load_b64 v[1:2], v0, s[4:5] scope:SCOPE_SYS
	s_wait_loadcnt 0x0
	v_cmp_ne_u64_e32 vcc_lo, s[8:9], v[1:2]
	s_cbranch_vccnz .LBB0_614
; %bb.615:                              ;   in Loop: Header=BB0_1 Depth=1
	s_add_co_i32 s8, s2, 0x133
	s_mov_b32 s9, s3
	s_wait_alu 0xfffe
	v_dual_mov_b32 v1, s8 :: v_dual_mov_b32 v2, s9
	global_store_b64 v0, v[1:2], s[6:7] scope:SCOPE_SYS
.LBB0_616:                              ;   Parent Loop BB0_1 Depth=1
                                        ; =>  This Inner Loop Header: Depth=2
	global_load_b64 v[1:2], v0, s[4:5] scope:SCOPE_SYS
	s_wait_loadcnt 0x0
	v_cmp_ne_u64_e32 vcc_lo, s[8:9], v[1:2]
	s_cbranch_vccnz .LBB0_616
; %bb.617:                              ;   in Loop: Header=BB0_1 Depth=1
	s_add_co_i32 s8, s2, 0x134
	s_mov_b32 s9, s3
	s_wait_alu 0xfffe
	v_dual_mov_b32 v1, s8 :: v_dual_mov_b32 v2, s9
	global_store_b64 v0, v[1:2], s[6:7] scope:SCOPE_SYS
.LBB0_618:                              ;   Parent Loop BB0_1 Depth=1
                                        ; =>  This Inner Loop Header: Depth=2
	global_load_b64 v[1:2], v0, s[4:5] scope:SCOPE_SYS
	s_wait_loadcnt 0x0
	v_cmp_ne_u64_e32 vcc_lo, s[8:9], v[1:2]
	s_cbranch_vccnz .LBB0_618
; %bb.619:                              ;   in Loop: Header=BB0_1 Depth=1
	s_add_co_i32 s8, s2, 0x135
	s_mov_b32 s9, s3
	s_wait_alu 0xfffe
	v_dual_mov_b32 v1, s8 :: v_dual_mov_b32 v2, s9
	global_store_b64 v0, v[1:2], s[6:7] scope:SCOPE_SYS
.LBB0_620:                              ;   Parent Loop BB0_1 Depth=1
                                        ; =>  This Inner Loop Header: Depth=2
	global_load_b64 v[1:2], v0, s[4:5] scope:SCOPE_SYS
	s_wait_loadcnt 0x0
	v_cmp_ne_u64_e32 vcc_lo, s[8:9], v[1:2]
	s_cbranch_vccnz .LBB0_620
; %bb.621:                              ;   in Loop: Header=BB0_1 Depth=1
	s_add_co_i32 s8, s2, 0x136
	s_mov_b32 s9, s3
	s_wait_alu 0xfffe
	v_dual_mov_b32 v1, s8 :: v_dual_mov_b32 v2, s9
	global_store_b64 v0, v[1:2], s[6:7] scope:SCOPE_SYS
.LBB0_622:                              ;   Parent Loop BB0_1 Depth=1
                                        ; =>  This Inner Loop Header: Depth=2
	global_load_b64 v[1:2], v0, s[4:5] scope:SCOPE_SYS
	s_wait_loadcnt 0x0
	v_cmp_ne_u64_e32 vcc_lo, s[8:9], v[1:2]
	s_cbranch_vccnz .LBB0_622
; %bb.623:                              ;   in Loop: Header=BB0_1 Depth=1
	s_add_co_i32 s8, s2, 0x137
	s_mov_b32 s9, s3
	s_wait_alu 0xfffe
	v_dual_mov_b32 v1, s8 :: v_dual_mov_b32 v2, s9
	global_store_b64 v0, v[1:2], s[6:7] scope:SCOPE_SYS
.LBB0_624:                              ;   Parent Loop BB0_1 Depth=1
                                        ; =>  This Inner Loop Header: Depth=2
	global_load_b64 v[1:2], v0, s[4:5] scope:SCOPE_SYS
	s_wait_loadcnt 0x0
	v_cmp_ne_u64_e32 vcc_lo, s[8:9], v[1:2]
	s_cbranch_vccnz .LBB0_624
; %bb.625:                              ;   in Loop: Header=BB0_1 Depth=1
	s_add_co_i32 s8, s2, 0x138
	s_mov_b32 s9, s3
	s_wait_alu 0xfffe
	v_dual_mov_b32 v1, s8 :: v_dual_mov_b32 v2, s9
	global_store_b64 v0, v[1:2], s[6:7] scope:SCOPE_SYS
.LBB0_626:                              ;   Parent Loop BB0_1 Depth=1
                                        ; =>  This Inner Loop Header: Depth=2
	global_load_b64 v[1:2], v0, s[4:5] scope:SCOPE_SYS
	s_wait_loadcnt 0x0
	v_cmp_ne_u64_e32 vcc_lo, s[8:9], v[1:2]
	s_cbranch_vccnz .LBB0_626
; %bb.627:                              ;   in Loop: Header=BB0_1 Depth=1
	s_add_co_i32 s8, s2, 0x139
	s_mov_b32 s9, s3
	s_wait_alu 0xfffe
	v_dual_mov_b32 v1, s8 :: v_dual_mov_b32 v2, s9
	global_store_b64 v0, v[1:2], s[6:7] scope:SCOPE_SYS
.LBB0_628:                              ;   Parent Loop BB0_1 Depth=1
                                        ; =>  This Inner Loop Header: Depth=2
	global_load_b64 v[1:2], v0, s[4:5] scope:SCOPE_SYS
	s_wait_loadcnt 0x0
	v_cmp_ne_u64_e32 vcc_lo, s[8:9], v[1:2]
	s_cbranch_vccnz .LBB0_628
; %bb.629:                              ;   in Loop: Header=BB0_1 Depth=1
	s_add_co_i32 s8, s2, 0x13a
	s_mov_b32 s9, s3
	s_wait_alu 0xfffe
	v_dual_mov_b32 v1, s8 :: v_dual_mov_b32 v2, s9
	global_store_b64 v0, v[1:2], s[6:7] scope:SCOPE_SYS
.LBB0_630:                              ;   Parent Loop BB0_1 Depth=1
                                        ; =>  This Inner Loop Header: Depth=2
	global_load_b64 v[1:2], v0, s[4:5] scope:SCOPE_SYS
	s_wait_loadcnt 0x0
	v_cmp_ne_u64_e32 vcc_lo, s[8:9], v[1:2]
	s_cbranch_vccnz .LBB0_630
; %bb.631:                              ;   in Loop: Header=BB0_1 Depth=1
	s_add_co_i32 s8, s2, 0x13b
	s_mov_b32 s9, s3
	s_wait_alu 0xfffe
	v_dual_mov_b32 v1, s8 :: v_dual_mov_b32 v2, s9
	global_store_b64 v0, v[1:2], s[6:7] scope:SCOPE_SYS
.LBB0_632:                              ;   Parent Loop BB0_1 Depth=1
                                        ; =>  This Inner Loop Header: Depth=2
	global_load_b64 v[1:2], v0, s[4:5] scope:SCOPE_SYS
	s_wait_loadcnt 0x0
	v_cmp_ne_u64_e32 vcc_lo, s[8:9], v[1:2]
	s_cbranch_vccnz .LBB0_632
; %bb.633:                              ;   in Loop: Header=BB0_1 Depth=1
	s_add_co_i32 s8, s2, 0x13c
	s_mov_b32 s9, s3
	s_wait_alu 0xfffe
	v_dual_mov_b32 v1, s8 :: v_dual_mov_b32 v2, s9
	global_store_b64 v0, v[1:2], s[6:7] scope:SCOPE_SYS
.LBB0_634:                              ;   Parent Loop BB0_1 Depth=1
                                        ; =>  This Inner Loop Header: Depth=2
	global_load_b64 v[1:2], v0, s[4:5] scope:SCOPE_SYS
	s_wait_loadcnt 0x0
	v_cmp_ne_u64_e32 vcc_lo, s[8:9], v[1:2]
	s_cbranch_vccnz .LBB0_634
; %bb.635:                              ;   in Loop: Header=BB0_1 Depth=1
	s_add_co_i32 s8, s2, 0x13d
	s_mov_b32 s9, s3
	s_wait_alu 0xfffe
	v_dual_mov_b32 v1, s8 :: v_dual_mov_b32 v2, s9
	global_store_b64 v0, v[1:2], s[6:7] scope:SCOPE_SYS
.LBB0_636:                              ;   Parent Loop BB0_1 Depth=1
                                        ; =>  This Inner Loop Header: Depth=2
	global_load_b64 v[1:2], v0, s[4:5] scope:SCOPE_SYS
	s_wait_loadcnt 0x0
	v_cmp_ne_u64_e32 vcc_lo, s[8:9], v[1:2]
	s_cbranch_vccnz .LBB0_636
; %bb.637:                              ;   in Loop: Header=BB0_1 Depth=1
	s_add_co_i32 s8, s2, 0x13e
	s_mov_b32 s9, s3
	s_wait_alu 0xfffe
	v_dual_mov_b32 v1, s8 :: v_dual_mov_b32 v2, s9
	global_store_b64 v0, v[1:2], s[6:7] scope:SCOPE_SYS
.LBB0_638:                              ;   Parent Loop BB0_1 Depth=1
                                        ; =>  This Inner Loop Header: Depth=2
	global_load_b64 v[1:2], v0, s[4:5] scope:SCOPE_SYS
	s_wait_loadcnt 0x0
	v_cmp_ne_u64_e32 vcc_lo, s[8:9], v[1:2]
	s_cbranch_vccnz .LBB0_638
; %bb.639:                              ;   in Loop: Header=BB0_1 Depth=1
	s_add_co_i32 s8, s2, 0x13f
	s_mov_b32 s9, s3
	s_wait_alu 0xfffe
	v_dual_mov_b32 v1, s8 :: v_dual_mov_b32 v2, s9
	global_store_b64 v0, v[1:2], s[6:7] scope:SCOPE_SYS
.LBB0_640:                              ;   Parent Loop BB0_1 Depth=1
                                        ; =>  This Inner Loop Header: Depth=2
	global_load_b64 v[1:2], v0, s[4:5] scope:SCOPE_SYS
	s_wait_loadcnt 0x0
	v_cmp_ne_u64_e32 vcc_lo, s[8:9], v[1:2]
	s_cbranch_vccnz .LBB0_640
; %bb.641:                              ;   in Loop: Header=BB0_1 Depth=1
	s_add_co_i32 s8, s2, 0x140
	s_mov_b32 s9, s3
	s_wait_alu 0xfffe
	v_dual_mov_b32 v1, s8 :: v_dual_mov_b32 v2, s9
	global_store_b64 v0, v[1:2], s[6:7] scope:SCOPE_SYS
.LBB0_642:                              ;   Parent Loop BB0_1 Depth=1
                                        ; =>  This Inner Loop Header: Depth=2
	global_load_b64 v[1:2], v0, s[4:5] scope:SCOPE_SYS
	s_wait_loadcnt 0x0
	v_cmp_ne_u64_e32 vcc_lo, s[8:9], v[1:2]
	s_cbranch_vccnz .LBB0_642
; %bb.643:                              ;   in Loop: Header=BB0_1 Depth=1
	s_add_co_i32 s8, s2, 0x141
	s_mov_b32 s9, s3
	s_wait_alu 0xfffe
	v_dual_mov_b32 v1, s8 :: v_dual_mov_b32 v2, s9
	global_store_b64 v0, v[1:2], s[6:7] scope:SCOPE_SYS
.LBB0_644:                              ;   Parent Loop BB0_1 Depth=1
                                        ; =>  This Inner Loop Header: Depth=2
	global_load_b64 v[1:2], v0, s[4:5] scope:SCOPE_SYS
	s_wait_loadcnt 0x0
	v_cmp_ne_u64_e32 vcc_lo, s[8:9], v[1:2]
	s_cbranch_vccnz .LBB0_644
; %bb.645:                              ;   in Loop: Header=BB0_1 Depth=1
	s_add_co_i32 s8, s2, 0x142
	s_mov_b32 s9, s3
	s_wait_alu 0xfffe
	v_dual_mov_b32 v1, s8 :: v_dual_mov_b32 v2, s9
	global_store_b64 v0, v[1:2], s[6:7] scope:SCOPE_SYS
.LBB0_646:                              ;   Parent Loop BB0_1 Depth=1
                                        ; =>  This Inner Loop Header: Depth=2
	global_load_b64 v[1:2], v0, s[4:5] scope:SCOPE_SYS
	s_wait_loadcnt 0x0
	v_cmp_ne_u64_e32 vcc_lo, s[8:9], v[1:2]
	s_cbranch_vccnz .LBB0_646
; %bb.647:                              ;   in Loop: Header=BB0_1 Depth=1
	s_add_co_i32 s8, s2, 0x143
	s_mov_b32 s9, s3
	s_wait_alu 0xfffe
	v_dual_mov_b32 v1, s8 :: v_dual_mov_b32 v2, s9
	global_store_b64 v0, v[1:2], s[6:7] scope:SCOPE_SYS
.LBB0_648:                              ;   Parent Loop BB0_1 Depth=1
                                        ; =>  This Inner Loop Header: Depth=2
	global_load_b64 v[1:2], v0, s[4:5] scope:SCOPE_SYS
	s_wait_loadcnt 0x0
	v_cmp_ne_u64_e32 vcc_lo, s[8:9], v[1:2]
	s_cbranch_vccnz .LBB0_648
; %bb.649:                              ;   in Loop: Header=BB0_1 Depth=1
	s_add_co_i32 s8, s2, 0x144
	s_mov_b32 s9, s3
	s_wait_alu 0xfffe
	v_dual_mov_b32 v1, s8 :: v_dual_mov_b32 v2, s9
	global_store_b64 v0, v[1:2], s[6:7] scope:SCOPE_SYS
.LBB0_650:                              ;   Parent Loop BB0_1 Depth=1
                                        ; =>  This Inner Loop Header: Depth=2
	global_load_b64 v[1:2], v0, s[4:5] scope:SCOPE_SYS
	s_wait_loadcnt 0x0
	v_cmp_ne_u64_e32 vcc_lo, s[8:9], v[1:2]
	s_cbranch_vccnz .LBB0_650
; %bb.651:                              ;   in Loop: Header=BB0_1 Depth=1
	s_add_co_i32 s8, s2, 0x145
	s_mov_b32 s9, s3
	s_wait_alu 0xfffe
	v_dual_mov_b32 v1, s8 :: v_dual_mov_b32 v2, s9
	global_store_b64 v0, v[1:2], s[6:7] scope:SCOPE_SYS
.LBB0_652:                              ;   Parent Loop BB0_1 Depth=1
                                        ; =>  This Inner Loop Header: Depth=2
	global_load_b64 v[1:2], v0, s[4:5] scope:SCOPE_SYS
	s_wait_loadcnt 0x0
	v_cmp_ne_u64_e32 vcc_lo, s[8:9], v[1:2]
	s_cbranch_vccnz .LBB0_652
; %bb.653:                              ;   in Loop: Header=BB0_1 Depth=1
	s_add_co_i32 s8, s2, 0x146
	s_mov_b32 s9, s3
	s_wait_alu 0xfffe
	v_dual_mov_b32 v1, s8 :: v_dual_mov_b32 v2, s9
	global_store_b64 v0, v[1:2], s[6:7] scope:SCOPE_SYS
.LBB0_654:                              ;   Parent Loop BB0_1 Depth=1
                                        ; =>  This Inner Loop Header: Depth=2
	global_load_b64 v[1:2], v0, s[4:5] scope:SCOPE_SYS
	s_wait_loadcnt 0x0
	v_cmp_ne_u64_e32 vcc_lo, s[8:9], v[1:2]
	s_cbranch_vccnz .LBB0_654
; %bb.655:                              ;   in Loop: Header=BB0_1 Depth=1
	s_add_co_i32 s8, s2, 0x147
	s_mov_b32 s9, s3
	s_wait_alu 0xfffe
	v_dual_mov_b32 v1, s8 :: v_dual_mov_b32 v2, s9
	global_store_b64 v0, v[1:2], s[6:7] scope:SCOPE_SYS
.LBB0_656:                              ;   Parent Loop BB0_1 Depth=1
                                        ; =>  This Inner Loop Header: Depth=2
	global_load_b64 v[1:2], v0, s[4:5] scope:SCOPE_SYS
	s_wait_loadcnt 0x0
	v_cmp_ne_u64_e32 vcc_lo, s[8:9], v[1:2]
	s_cbranch_vccnz .LBB0_656
; %bb.657:                              ;   in Loop: Header=BB0_1 Depth=1
	s_add_co_i32 s8, s2, 0x148
	s_mov_b32 s9, s3
	s_wait_alu 0xfffe
	v_dual_mov_b32 v1, s8 :: v_dual_mov_b32 v2, s9
	global_store_b64 v0, v[1:2], s[6:7] scope:SCOPE_SYS
.LBB0_658:                              ;   Parent Loop BB0_1 Depth=1
                                        ; =>  This Inner Loop Header: Depth=2
	global_load_b64 v[1:2], v0, s[4:5] scope:SCOPE_SYS
	s_wait_loadcnt 0x0
	v_cmp_ne_u64_e32 vcc_lo, s[8:9], v[1:2]
	s_cbranch_vccnz .LBB0_658
; %bb.659:                              ;   in Loop: Header=BB0_1 Depth=1
	s_add_co_i32 s8, s2, 0x149
	s_mov_b32 s9, s3
	s_wait_alu 0xfffe
	v_dual_mov_b32 v1, s8 :: v_dual_mov_b32 v2, s9
	global_store_b64 v0, v[1:2], s[6:7] scope:SCOPE_SYS
.LBB0_660:                              ;   Parent Loop BB0_1 Depth=1
                                        ; =>  This Inner Loop Header: Depth=2
	global_load_b64 v[1:2], v0, s[4:5] scope:SCOPE_SYS
	s_wait_loadcnt 0x0
	v_cmp_ne_u64_e32 vcc_lo, s[8:9], v[1:2]
	s_cbranch_vccnz .LBB0_660
; %bb.661:                              ;   in Loop: Header=BB0_1 Depth=1
	s_add_co_i32 s8, s2, 0x14a
	s_mov_b32 s9, s3
	s_wait_alu 0xfffe
	v_dual_mov_b32 v1, s8 :: v_dual_mov_b32 v2, s9
	global_store_b64 v0, v[1:2], s[6:7] scope:SCOPE_SYS
.LBB0_662:                              ;   Parent Loop BB0_1 Depth=1
                                        ; =>  This Inner Loop Header: Depth=2
	global_load_b64 v[1:2], v0, s[4:5] scope:SCOPE_SYS
	s_wait_loadcnt 0x0
	v_cmp_ne_u64_e32 vcc_lo, s[8:9], v[1:2]
	s_cbranch_vccnz .LBB0_662
; %bb.663:                              ;   in Loop: Header=BB0_1 Depth=1
	s_add_co_i32 s8, s2, 0x14b
	s_mov_b32 s9, s3
	s_wait_alu 0xfffe
	v_dual_mov_b32 v1, s8 :: v_dual_mov_b32 v2, s9
	global_store_b64 v0, v[1:2], s[6:7] scope:SCOPE_SYS
.LBB0_664:                              ;   Parent Loop BB0_1 Depth=1
                                        ; =>  This Inner Loop Header: Depth=2
	global_load_b64 v[1:2], v0, s[4:5] scope:SCOPE_SYS
	s_wait_loadcnt 0x0
	v_cmp_ne_u64_e32 vcc_lo, s[8:9], v[1:2]
	s_cbranch_vccnz .LBB0_664
; %bb.665:                              ;   in Loop: Header=BB0_1 Depth=1
	s_add_co_i32 s8, s2, 0x14c
	s_mov_b32 s9, s3
	s_wait_alu 0xfffe
	v_dual_mov_b32 v1, s8 :: v_dual_mov_b32 v2, s9
	global_store_b64 v0, v[1:2], s[6:7] scope:SCOPE_SYS
.LBB0_666:                              ;   Parent Loop BB0_1 Depth=1
                                        ; =>  This Inner Loop Header: Depth=2
	global_load_b64 v[1:2], v0, s[4:5] scope:SCOPE_SYS
	s_wait_loadcnt 0x0
	v_cmp_ne_u64_e32 vcc_lo, s[8:9], v[1:2]
	s_cbranch_vccnz .LBB0_666
; %bb.667:                              ;   in Loop: Header=BB0_1 Depth=1
	s_add_co_i32 s8, s2, 0x14d
	s_mov_b32 s9, s3
	s_wait_alu 0xfffe
	v_dual_mov_b32 v1, s8 :: v_dual_mov_b32 v2, s9
	global_store_b64 v0, v[1:2], s[6:7] scope:SCOPE_SYS
.LBB0_668:                              ;   Parent Loop BB0_1 Depth=1
                                        ; =>  This Inner Loop Header: Depth=2
	global_load_b64 v[1:2], v0, s[4:5] scope:SCOPE_SYS
	s_wait_loadcnt 0x0
	v_cmp_ne_u64_e32 vcc_lo, s[8:9], v[1:2]
	s_cbranch_vccnz .LBB0_668
; %bb.669:                              ;   in Loop: Header=BB0_1 Depth=1
	s_add_co_i32 s8, s2, 0x14e
	s_mov_b32 s9, s3
	s_wait_alu 0xfffe
	v_dual_mov_b32 v1, s8 :: v_dual_mov_b32 v2, s9
	global_store_b64 v0, v[1:2], s[6:7] scope:SCOPE_SYS
.LBB0_670:                              ;   Parent Loop BB0_1 Depth=1
                                        ; =>  This Inner Loop Header: Depth=2
	global_load_b64 v[1:2], v0, s[4:5] scope:SCOPE_SYS
	s_wait_loadcnt 0x0
	v_cmp_ne_u64_e32 vcc_lo, s[8:9], v[1:2]
	s_cbranch_vccnz .LBB0_670
; %bb.671:                              ;   in Loop: Header=BB0_1 Depth=1
	s_add_co_i32 s8, s2, 0x14f
	s_mov_b32 s9, s3
	s_wait_alu 0xfffe
	v_dual_mov_b32 v1, s8 :: v_dual_mov_b32 v2, s9
	global_store_b64 v0, v[1:2], s[6:7] scope:SCOPE_SYS
.LBB0_672:                              ;   Parent Loop BB0_1 Depth=1
                                        ; =>  This Inner Loop Header: Depth=2
	global_load_b64 v[1:2], v0, s[4:5] scope:SCOPE_SYS
	s_wait_loadcnt 0x0
	v_cmp_ne_u64_e32 vcc_lo, s[8:9], v[1:2]
	s_cbranch_vccnz .LBB0_672
; %bb.673:                              ;   in Loop: Header=BB0_1 Depth=1
	s_add_co_i32 s8, s2, 0x150
	s_mov_b32 s9, s3
	s_wait_alu 0xfffe
	v_dual_mov_b32 v1, s8 :: v_dual_mov_b32 v2, s9
	global_store_b64 v0, v[1:2], s[6:7] scope:SCOPE_SYS
.LBB0_674:                              ;   Parent Loop BB0_1 Depth=1
                                        ; =>  This Inner Loop Header: Depth=2
	global_load_b64 v[1:2], v0, s[4:5] scope:SCOPE_SYS
	s_wait_loadcnt 0x0
	v_cmp_ne_u64_e32 vcc_lo, s[8:9], v[1:2]
	s_cbranch_vccnz .LBB0_674
; %bb.675:                              ;   in Loop: Header=BB0_1 Depth=1
	s_add_co_i32 s8, s2, 0x151
	s_mov_b32 s9, s3
	s_wait_alu 0xfffe
	v_dual_mov_b32 v1, s8 :: v_dual_mov_b32 v2, s9
	global_store_b64 v0, v[1:2], s[6:7] scope:SCOPE_SYS
.LBB0_676:                              ;   Parent Loop BB0_1 Depth=1
                                        ; =>  This Inner Loop Header: Depth=2
	global_load_b64 v[1:2], v0, s[4:5] scope:SCOPE_SYS
	s_wait_loadcnt 0x0
	v_cmp_ne_u64_e32 vcc_lo, s[8:9], v[1:2]
	s_cbranch_vccnz .LBB0_676
; %bb.677:                              ;   in Loop: Header=BB0_1 Depth=1
	s_add_co_i32 s8, s2, 0x152
	s_mov_b32 s9, s3
	s_wait_alu 0xfffe
	v_dual_mov_b32 v1, s8 :: v_dual_mov_b32 v2, s9
	global_store_b64 v0, v[1:2], s[6:7] scope:SCOPE_SYS
.LBB0_678:                              ;   Parent Loop BB0_1 Depth=1
                                        ; =>  This Inner Loop Header: Depth=2
	global_load_b64 v[1:2], v0, s[4:5] scope:SCOPE_SYS
	s_wait_loadcnt 0x0
	v_cmp_ne_u64_e32 vcc_lo, s[8:9], v[1:2]
	s_cbranch_vccnz .LBB0_678
; %bb.679:                              ;   in Loop: Header=BB0_1 Depth=1
	s_add_co_i32 s8, s2, 0x153
	s_mov_b32 s9, s3
	s_wait_alu 0xfffe
	v_dual_mov_b32 v1, s8 :: v_dual_mov_b32 v2, s9
	global_store_b64 v0, v[1:2], s[6:7] scope:SCOPE_SYS
.LBB0_680:                              ;   Parent Loop BB0_1 Depth=1
                                        ; =>  This Inner Loop Header: Depth=2
	global_load_b64 v[1:2], v0, s[4:5] scope:SCOPE_SYS
	s_wait_loadcnt 0x0
	v_cmp_ne_u64_e32 vcc_lo, s[8:9], v[1:2]
	s_cbranch_vccnz .LBB0_680
; %bb.681:                              ;   in Loop: Header=BB0_1 Depth=1
	s_add_co_i32 s8, s2, 0x154
	s_mov_b32 s9, s3
	s_wait_alu 0xfffe
	v_dual_mov_b32 v1, s8 :: v_dual_mov_b32 v2, s9
	global_store_b64 v0, v[1:2], s[6:7] scope:SCOPE_SYS
.LBB0_682:                              ;   Parent Loop BB0_1 Depth=1
                                        ; =>  This Inner Loop Header: Depth=2
	global_load_b64 v[1:2], v0, s[4:5] scope:SCOPE_SYS
	s_wait_loadcnt 0x0
	v_cmp_ne_u64_e32 vcc_lo, s[8:9], v[1:2]
	s_cbranch_vccnz .LBB0_682
; %bb.683:                              ;   in Loop: Header=BB0_1 Depth=1
	s_add_co_i32 s8, s2, 0x155
	s_mov_b32 s9, s3
	s_wait_alu 0xfffe
	v_dual_mov_b32 v1, s8 :: v_dual_mov_b32 v2, s9
	global_store_b64 v0, v[1:2], s[6:7] scope:SCOPE_SYS
.LBB0_684:                              ;   Parent Loop BB0_1 Depth=1
                                        ; =>  This Inner Loop Header: Depth=2
	global_load_b64 v[1:2], v0, s[4:5] scope:SCOPE_SYS
	s_wait_loadcnt 0x0
	v_cmp_ne_u64_e32 vcc_lo, s[8:9], v[1:2]
	s_cbranch_vccnz .LBB0_684
; %bb.685:                              ;   in Loop: Header=BB0_1 Depth=1
	s_add_co_i32 s8, s2, 0x156
	s_mov_b32 s9, s3
	s_wait_alu 0xfffe
	v_dual_mov_b32 v1, s8 :: v_dual_mov_b32 v2, s9
	global_store_b64 v0, v[1:2], s[6:7] scope:SCOPE_SYS
.LBB0_686:                              ;   Parent Loop BB0_1 Depth=1
                                        ; =>  This Inner Loop Header: Depth=2
	global_load_b64 v[1:2], v0, s[4:5] scope:SCOPE_SYS
	s_wait_loadcnt 0x0
	v_cmp_ne_u64_e32 vcc_lo, s[8:9], v[1:2]
	s_cbranch_vccnz .LBB0_686
; %bb.687:                              ;   in Loop: Header=BB0_1 Depth=1
	s_add_co_i32 s8, s2, 0x157
	s_mov_b32 s9, s3
	s_wait_alu 0xfffe
	v_dual_mov_b32 v1, s8 :: v_dual_mov_b32 v2, s9
	global_store_b64 v0, v[1:2], s[6:7] scope:SCOPE_SYS
.LBB0_688:                              ;   Parent Loop BB0_1 Depth=1
                                        ; =>  This Inner Loop Header: Depth=2
	global_load_b64 v[1:2], v0, s[4:5] scope:SCOPE_SYS
	s_wait_loadcnt 0x0
	v_cmp_ne_u64_e32 vcc_lo, s[8:9], v[1:2]
	s_cbranch_vccnz .LBB0_688
; %bb.689:                              ;   in Loop: Header=BB0_1 Depth=1
	s_add_co_i32 s8, s2, 0x158
	s_mov_b32 s9, s3
	s_wait_alu 0xfffe
	v_dual_mov_b32 v1, s8 :: v_dual_mov_b32 v2, s9
	global_store_b64 v0, v[1:2], s[6:7] scope:SCOPE_SYS
.LBB0_690:                              ;   Parent Loop BB0_1 Depth=1
                                        ; =>  This Inner Loop Header: Depth=2
	global_load_b64 v[1:2], v0, s[4:5] scope:SCOPE_SYS
	s_wait_loadcnt 0x0
	v_cmp_ne_u64_e32 vcc_lo, s[8:9], v[1:2]
	s_cbranch_vccnz .LBB0_690
; %bb.691:                              ;   in Loop: Header=BB0_1 Depth=1
	s_add_co_i32 s8, s2, 0x159
	s_mov_b32 s9, s3
	s_wait_alu 0xfffe
	v_dual_mov_b32 v1, s8 :: v_dual_mov_b32 v2, s9
	global_store_b64 v0, v[1:2], s[6:7] scope:SCOPE_SYS
.LBB0_692:                              ;   Parent Loop BB0_1 Depth=1
                                        ; =>  This Inner Loop Header: Depth=2
	global_load_b64 v[1:2], v0, s[4:5] scope:SCOPE_SYS
	s_wait_loadcnt 0x0
	v_cmp_ne_u64_e32 vcc_lo, s[8:9], v[1:2]
	s_cbranch_vccnz .LBB0_692
; %bb.693:                              ;   in Loop: Header=BB0_1 Depth=1
	s_add_co_i32 s8, s2, 0x15a
	s_mov_b32 s9, s3
	s_wait_alu 0xfffe
	v_dual_mov_b32 v1, s8 :: v_dual_mov_b32 v2, s9
	global_store_b64 v0, v[1:2], s[6:7] scope:SCOPE_SYS
.LBB0_694:                              ;   Parent Loop BB0_1 Depth=1
                                        ; =>  This Inner Loop Header: Depth=2
	global_load_b64 v[1:2], v0, s[4:5] scope:SCOPE_SYS
	s_wait_loadcnt 0x0
	v_cmp_ne_u64_e32 vcc_lo, s[8:9], v[1:2]
	s_cbranch_vccnz .LBB0_694
; %bb.695:                              ;   in Loop: Header=BB0_1 Depth=1
	s_add_co_i32 s8, s2, 0x15b
	s_mov_b32 s9, s3
	s_wait_alu 0xfffe
	v_dual_mov_b32 v1, s8 :: v_dual_mov_b32 v2, s9
	global_store_b64 v0, v[1:2], s[6:7] scope:SCOPE_SYS
.LBB0_696:                              ;   Parent Loop BB0_1 Depth=1
                                        ; =>  This Inner Loop Header: Depth=2
	global_load_b64 v[1:2], v0, s[4:5] scope:SCOPE_SYS
	s_wait_loadcnt 0x0
	v_cmp_ne_u64_e32 vcc_lo, s[8:9], v[1:2]
	s_cbranch_vccnz .LBB0_696
; %bb.697:                              ;   in Loop: Header=BB0_1 Depth=1
	s_add_co_i32 s8, s2, 0x15c
	s_mov_b32 s9, s3
	s_wait_alu 0xfffe
	v_dual_mov_b32 v1, s8 :: v_dual_mov_b32 v2, s9
	global_store_b64 v0, v[1:2], s[6:7] scope:SCOPE_SYS
.LBB0_698:                              ;   Parent Loop BB0_1 Depth=1
                                        ; =>  This Inner Loop Header: Depth=2
	global_load_b64 v[1:2], v0, s[4:5] scope:SCOPE_SYS
	s_wait_loadcnt 0x0
	v_cmp_ne_u64_e32 vcc_lo, s[8:9], v[1:2]
	s_cbranch_vccnz .LBB0_698
; %bb.699:                              ;   in Loop: Header=BB0_1 Depth=1
	s_add_co_i32 s8, s2, 0x15d
	s_mov_b32 s9, s3
	s_wait_alu 0xfffe
	v_dual_mov_b32 v1, s8 :: v_dual_mov_b32 v2, s9
	global_store_b64 v0, v[1:2], s[6:7] scope:SCOPE_SYS
.LBB0_700:                              ;   Parent Loop BB0_1 Depth=1
                                        ; =>  This Inner Loop Header: Depth=2
	global_load_b64 v[1:2], v0, s[4:5] scope:SCOPE_SYS
	s_wait_loadcnt 0x0
	v_cmp_ne_u64_e32 vcc_lo, s[8:9], v[1:2]
	s_cbranch_vccnz .LBB0_700
; %bb.701:                              ;   in Loop: Header=BB0_1 Depth=1
	s_add_co_i32 s8, s2, 0x15e
	s_mov_b32 s9, s3
	s_wait_alu 0xfffe
	v_dual_mov_b32 v1, s8 :: v_dual_mov_b32 v2, s9
	global_store_b64 v0, v[1:2], s[6:7] scope:SCOPE_SYS
.LBB0_702:                              ;   Parent Loop BB0_1 Depth=1
                                        ; =>  This Inner Loop Header: Depth=2
	global_load_b64 v[1:2], v0, s[4:5] scope:SCOPE_SYS
	s_wait_loadcnt 0x0
	v_cmp_ne_u64_e32 vcc_lo, s[8:9], v[1:2]
	s_cbranch_vccnz .LBB0_702
; %bb.703:                              ;   in Loop: Header=BB0_1 Depth=1
	s_add_co_i32 s8, s2, 0x15f
	s_mov_b32 s9, s3
	s_wait_alu 0xfffe
	v_dual_mov_b32 v1, s8 :: v_dual_mov_b32 v2, s9
	global_store_b64 v0, v[1:2], s[6:7] scope:SCOPE_SYS
.LBB0_704:                              ;   Parent Loop BB0_1 Depth=1
                                        ; =>  This Inner Loop Header: Depth=2
	global_load_b64 v[1:2], v0, s[4:5] scope:SCOPE_SYS
	s_wait_loadcnt 0x0
	v_cmp_ne_u64_e32 vcc_lo, s[8:9], v[1:2]
	s_cbranch_vccnz .LBB0_704
; %bb.705:                              ;   in Loop: Header=BB0_1 Depth=1
	s_add_co_i32 s8, s2, 0x160
	s_mov_b32 s9, s3
	s_wait_alu 0xfffe
	v_dual_mov_b32 v1, s8 :: v_dual_mov_b32 v2, s9
	global_store_b64 v0, v[1:2], s[6:7] scope:SCOPE_SYS
.LBB0_706:                              ;   Parent Loop BB0_1 Depth=1
                                        ; =>  This Inner Loop Header: Depth=2
	global_load_b64 v[1:2], v0, s[4:5] scope:SCOPE_SYS
	s_wait_loadcnt 0x0
	v_cmp_ne_u64_e32 vcc_lo, s[8:9], v[1:2]
	s_cbranch_vccnz .LBB0_706
; %bb.707:                              ;   in Loop: Header=BB0_1 Depth=1
	s_add_co_i32 s8, s2, 0x161
	s_mov_b32 s9, s3
	s_wait_alu 0xfffe
	v_dual_mov_b32 v1, s8 :: v_dual_mov_b32 v2, s9
	global_store_b64 v0, v[1:2], s[6:7] scope:SCOPE_SYS
.LBB0_708:                              ;   Parent Loop BB0_1 Depth=1
                                        ; =>  This Inner Loop Header: Depth=2
	global_load_b64 v[1:2], v0, s[4:5] scope:SCOPE_SYS
	s_wait_loadcnt 0x0
	v_cmp_ne_u64_e32 vcc_lo, s[8:9], v[1:2]
	s_cbranch_vccnz .LBB0_708
; %bb.709:                              ;   in Loop: Header=BB0_1 Depth=1
	s_add_co_i32 s8, s2, 0x162
	s_mov_b32 s9, s3
	s_wait_alu 0xfffe
	v_dual_mov_b32 v1, s8 :: v_dual_mov_b32 v2, s9
	global_store_b64 v0, v[1:2], s[6:7] scope:SCOPE_SYS
.LBB0_710:                              ;   Parent Loop BB0_1 Depth=1
                                        ; =>  This Inner Loop Header: Depth=2
	global_load_b64 v[1:2], v0, s[4:5] scope:SCOPE_SYS
	s_wait_loadcnt 0x0
	v_cmp_ne_u64_e32 vcc_lo, s[8:9], v[1:2]
	s_cbranch_vccnz .LBB0_710
; %bb.711:                              ;   in Loop: Header=BB0_1 Depth=1
	s_add_co_i32 s8, s2, 0x163
	s_mov_b32 s9, s3
	s_wait_alu 0xfffe
	v_dual_mov_b32 v1, s8 :: v_dual_mov_b32 v2, s9
	global_store_b64 v0, v[1:2], s[6:7] scope:SCOPE_SYS
.LBB0_712:                              ;   Parent Loop BB0_1 Depth=1
                                        ; =>  This Inner Loop Header: Depth=2
	global_load_b64 v[1:2], v0, s[4:5] scope:SCOPE_SYS
	s_wait_loadcnt 0x0
	v_cmp_ne_u64_e32 vcc_lo, s[8:9], v[1:2]
	s_cbranch_vccnz .LBB0_712
; %bb.713:                              ;   in Loop: Header=BB0_1 Depth=1
	s_add_co_i32 s8, s2, 0x164
	s_mov_b32 s9, s3
	s_wait_alu 0xfffe
	v_dual_mov_b32 v1, s8 :: v_dual_mov_b32 v2, s9
	global_store_b64 v0, v[1:2], s[6:7] scope:SCOPE_SYS
.LBB0_714:                              ;   Parent Loop BB0_1 Depth=1
                                        ; =>  This Inner Loop Header: Depth=2
	global_load_b64 v[1:2], v0, s[4:5] scope:SCOPE_SYS
	s_wait_loadcnt 0x0
	v_cmp_ne_u64_e32 vcc_lo, s[8:9], v[1:2]
	s_cbranch_vccnz .LBB0_714
; %bb.715:                              ;   in Loop: Header=BB0_1 Depth=1
	s_add_co_i32 s8, s2, 0x165
	s_mov_b32 s9, s3
	s_wait_alu 0xfffe
	v_dual_mov_b32 v1, s8 :: v_dual_mov_b32 v2, s9
	global_store_b64 v0, v[1:2], s[6:7] scope:SCOPE_SYS
.LBB0_716:                              ;   Parent Loop BB0_1 Depth=1
                                        ; =>  This Inner Loop Header: Depth=2
	global_load_b64 v[1:2], v0, s[4:5] scope:SCOPE_SYS
	s_wait_loadcnt 0x0
	v_cmp_ne_u64_e32 vcc_lo, s[8:9], v[1:2]
	s_cbranch_vccnz .LBB0_716
; %bb.717:                              ;   in Loop: Header=BB0_1 Depth=1
	s_add_co_i32 s8, s2, 0x166
	s_mov_b32 s9, s3
	s_wait_alu 0xfffe
	v_dual_mov_b32 v1, s8 :: v_dual_mov_b32 v2, s9
	global_store_b64 v0, v[1:2], s[6:7] scope:SCOPE_SYS
.LBB0_718:                              ;   Parent Loop BB0_1 Depth=1
                                        ; =>  This Inner Loop Header: Depth=2
	global_load_b64 v[1:2], v0, s[4:5] scope:SCOPE_SYS
	s_wait_loadcnt 0x0
	v_cmp_ne_u64_e32 vcc_lo, s[8:9], v[1:2]
	s_cbranch_vccnz .LBB0_718
; %bb.719:                              ;   in Loop: Header=BB0_1 Depth=1
	s_add_co_i32 s8, s2, 0x167
	s_mov_b32 s9, s3
	s_wait_alu 0xfffe
	v_dual_mov_b32 v1, s8 :: v_dual_mov_b32 v2, s9
	global_store_b64 v0, v[1:2], s[6:7] scope:SCOPE_SYS
.LBB0_720:                              ;   Parent Loop BB0_1 Depth=1
                                        ; =>  This Inner Loop Header: Depth=2
	global_load_b64 v[1:2], v0, s[4:5] scope:SCOPE_SYS
	s_wait_loadcnt 0x0
	v_cmp_ne_u64_e32 vcc_lo, s[8:9], v[1:2]
	s_cbranch_vccnz .LBB0_720
; %bb.721:                              ;   in Loop: Header=BB0_1 Depth=1
	s_add_co_i32 s8, s2, 0x168
	s_mov_b32 s9, s3
	s_wait_alu 0xfffe
	v_dual_mov_b32 v1, s8 :: v_dual_mov_b32 v2, s9
	global_store_b64 v0, v[1:2], s[6:7] scope:SCOPE_SYS
.LBB0_722:                              ;   Parent Loop BB0_1 Depth=1
                                        ; =>  This Inner Loop Header: Depth=2
	global_load_b64 v[1:2], v0, s[4:5] scope:SCOPE_SYS
	s_wait_loadcnt 0x0
	v_cmp_ne_u64_e32 vcc_lo, s[8:9], v[1:2]
	s_cbranch_vccnz .LBB0_722
; %bb.723:                              ;   in Loop: Header=BB0_1 Depth=1
	s_add_co_i32 s8, s2, 0x169
	s_mov_b32 s9, s3
	s_wait_alu 0xfffe
	v_dual_mov_b32 v1, s8 :: v_dual_mov_b32 v2, s9
	global_store_b64 v0, v[1:2], s[6:7] scope:SCOPE_SYS
.LBB0_724:                              ;   Parent Loop BB0_1 Depth=1
                                        ; =>  This Inner Loop Header: Depth=2
	global_load_b64 v[1:2], v0, s[4:5] scope:SCOPE_SYS
	s_wait_loadcnt 0x0
	v_cmp_ne_u64_e32 vcc_lo, s[8:9], v[1:2]
	s_cbranch_vccnz .LBB0_724
; %bb.725:                              ;   in Loop: Header=BB0_1 Depth=1
	s_add_co_i32 s8, s2, 0x16a
	s_mov_b32 s9, s3
	s_wait_alu 0xfffe
	v_dual_mov_b32 v1, s8 :: v_dual_mov_b32 v2, s9
	global_store_b64 v0, v[1:2], s[6:7] scope:SCOPE_SYS
.LBB0_726:                              ;   Parent Loop BB0_1 Depth=1
                                        ; =>  This Inner Loop Header: Depth=2
	global_load_b64 v[1:2], v0, s[4:5] scope:SCOPE_SYS
	s_wait_loadcnt 0x0
	v_cmp_ne_u64_e32 vcc_lo, s[8:9], v[1:2]
	s_cbranch_vccnz .LBB0_726
; %bb.727:                              ;   in Loop: Header=BB0_1 Depth=1
	s_add_co_i32 s8, s2, 0x16b
	s_mov_b32 s9, s3
	s_wait_alu 0xfffe
	v_dual_mov_b32 v1, s8 :: v_dual_mov_b32 v2, s9
	global_store_b64 v0, v[1:2], s[6:7] scope:SCOPE_SYS
.LBB0_728:                              ;   Parent Loop BB0_1 Depth=1
                                        ; =>  This Inner Loop Header: Depth=2
	global_load_b64 v[1:2], v0, s[4:5] scope:SCOPE_SYS
	s_wait_loadcnt 0x0
	v_cmp_ne_u64_e32 vcc_lo, s[8:9], v[1:2]
	s_cbranch_vccnz .LBB0_728
; %bb.729:                              ;   in Loop: Header=BB0_1 Depth=1
	s_add_co_i32 s8, s2, 0x16c
	s_mov_b32 s9, s3
	s_wait_alu 0xfffe
	v_dual_mov_b32 v1, s8 :: v_dual_mov_b32 v2, s9
	global_store_b64 v0, v[1:2], s[6:7] scope:SCOPE_SYS
.LBB0_730:                              ;   Parent Loop BB0_1 Depth=1
                                        ; =>  This Inner Loop Header: Depth=2
	global_load_b64 v[1:2], v0, s[4:5] scope:SCOPE_SYS
	s_wait_loadcnt 0x0
	v_cmp_ne_u64_e32 vcc_lo, s[8:9], v[1:2]
	s_cbranch_vccnz .LBB0_730
; %bb.731:                              ;   in Loop: Header=BB0_1 Depth=1
	s_add_co_i32 s8, s2, 0x16d
	s_mov_b32 s9, s3
	s_wait_alu 0xfffe
	v_dual_mov_b32 v1, s8 :: v_dual_mov_b32 v2, s9
	global_store_b64 v0, v[1:2], s[6:7] scope:SCOPE_SYS
.LBB0_732:                              ;   Parent Loop BB0_1 Depth=1
                                        ; =>  This Inner Loop Header: Depth=2
	global_load_b64 v[1:2], v0, s[4:5] scope:SCOPE_SYS
	s_wait_loadcnt 0x0
	v_cmp_ne_u64_e32 vcc_lo, s[8:9], v[1:2]
	s_cbranch_vccnz .LBB0_732
; %bb.733:                              ;   in Loop: Header=BB0_1 Depth=1
	s_add_co_i32 s8, s2, 0x16e
	s_mov_b32 s9, s3
	s_wait_alu 0xfffe
	v_dual_mov_b32 v1, s8 :: v_dual_mov_b32 v2, s9
	global_store_b64 v0, v[1:2], s[6:7] scope:SCOPE_SYS
.LBB0_734:                              ;   Parent Loop BB0_1 Depth=1
                                        ; =>  This Inner Loop Header: Depth=2
	global_load_b64 v[1:2], v0, s[4:5] scope:SCOPE_SYS
	s_wait_loadcnt 0x0
	v_cmp_ne_u64_e32 vcc_lo, s[8:9], v[1:2]
	s_cbranch_vccnz .LBB0_734
; %bb.735:                              ;   in Loop: Header=BB0_1 Depth=1
	s_add_co_i32 s8, s2, 0x16f
	s_mov_b32 s9, s3
	s_wait_alu 0xfffe
	v_dual_mov_b32 v1, s8 :: v_dual_mov_b32 v2, s9
	global_store_b64 v0, v[1:2], s[6:7] scope:SCOPE_SYS
.LBB0_736:                              ;   Parent Loop BB0_1 Depth=1
                                        ; =>  This Inner Loop Header: Depth=2
	global_load_b64 v[1:2], v0, s[4:5] scope:SCOPE_SYS
	s_wait_loadcnt 0x0
	v_cmp_ne_u64_e32 vcc_lo, s[8:9], v[1:2]
	s_cbranch_vccnz .LBB0_736
; %bb.737:                              ;   in Loop: Header=BB0_1 Depth=1
	s_add_co_i32 s8, s2, 0x170
	s_mov_b32 s9, s3
	s_wait_alu 0xfffe
	v_dual_mov_b32 v1, s8 :: v_dual_mov_b32 v2, s9
	global_store_b64 v0, v[1:2], s[6:7] scope:SCOPE_SYS
.LBB0_738:                              ;   Parent Loop BB0_1 Depth=1
                                        ; =>  This Inner Loop Header: Depth=2
	global_load_b64 v[1:2], v0, s[4:5] scope:SCOPE_SYS
	s_wait_loadcnt 0x0
	v_cmp_ne_u64_e32 vcc_lo, s[8:9], v[1:2]
	s_cbranch_vccnz .LBB0_738
; %bb.739:                              ;   in Loop: Header=BB0_1 Depth=1
	s_add_co_i32 s8, s2, 0x171
	s_mov_b32 s9, s3
	s_wait_alu 0xfffe
	v_dual_mov_b32 v1, s8 :: v_dual_mov_b32 v2, s9
	global_store_b64 v0, v[1:2], s[6:7] scope:SCOPE_SYS
.LBB0_740:                              ;   Parent Loop BB0_1 Depth=1
                                        ; =>  This Inner Loop Header: Depth=2
	global_load_b64 v[1:2], v0, s[4:5] scope:SCOPE_SYS
	s_wait_loadcnt 0x0
	v_cmp_ne_u64_e32 vcc_lo, s[8:9], v[1:2]
	s_cbranch_vccnz .LBB0_740
; %bb.741:                              ;   in Loop: Header=BB0_1 Depth=1
	s_add_co_i32 s8, s2, 0x172
	s_mov_b32 s9, s3
	s_wait_alu 0xfffe
	v_dual_mov_b32 v1, s8 :: v_dual_mov_b32 v2, s9
	global_store_b64 v0, v[1:2], s[6:7] scope:SCOPE_SYS
.LBB0_742:                              ;   Parent Loop BB0_1 Depth=1
                                        ; =>  This Inner Loop Header: Depth=2
	global_load_b64 v[1:2], v0, s[4:5] scope:SCOPE_SYS
	s_wait_loadcnt 0x0
	v_cmp_ne_u64_e32 vcc_lo, s[8:9], v[1:2]
	s_cbranch_vccnz .LBB0_742
; %bb.743:                              ;   in Loop: Header=BB0_1 Depth=1
	s_add_co_i32 s8, s2, 0x173
	s_mov_b32 s9, s3
	s_wait_alu 0xfffe
	v_dual_mov_b32 v1, s8 :: v_dual_mov_b32 v2, s9
	global_store_b64 v0, v[1:2], s[6:7] scope:SCOPE_SYS
.LBB0_744:                              ;   Parent Loop BB0_1 Depth=1
                                        ; =>  This Inner Loop Header: Depth=2
	global_load_b64 v[1:2], v0, s[4:5] scope:SCOPE_SYS
	s_wait_loadcnt 0x0
	v_cmp_ne_u64_e32 vcc_lo, s[8:9], v[1:2]
	s_cbranch_vccnz .LBB0_744
; %bb.745:                              ;   in Loop: Header=BB0_1 Depth=1
	s_add_co_i32 s8, s2, 0x174
	s_mov_b32 s9, s3
	s_wait_alu 0xfffe
	v_dual_mov_b32 v1, s8 :: v_dual_mov_b32 v2, s9
	global_store_b64 v0, v[1:2], s[6:7] scope:SCOPE_SYS
.LBB0_746:                              ;   Parent Loop BB0_1 Depth=1
                                        ; =>  This Inner Loop Header: Depth=2
	global_load_b64 v[1:2], v0, s[4:5] scope:SCOPE_SYS
	s_wait_loadcnt 0x0
	v_cmp_ne_u64_e32 vcc_lo, s[8:9], v[1:2]
	s_cbranch_vccnz .LBB0_746
; %bb.747:                              ;   in Loop: Header=BB0_1 Depth=1
	s_add_co_i32 s8, s2, 0x175
	s_mov_b32 s9, s3
	s_wait_alu 0xfffe
	v_dual_mov_b32 v1, s8 :: v_dual_mov_b32 v2, s9
	global_store_b64 v0, v[1:2], s[6:7] scope:SCOPE_SYS
.LBB0_748:                              ;   Parent Loop BB0_1 Depth=1
                                        ; =>  This Inner Loop Header: Depth=2
	global_load_b64 v[1:2], v0, s[4:5] scope:SCOPE_SYS
	s_wait_loadcnt 0x0
	v_cmp_ne_u64_e32 vcc_lo, s[8:9], v[1:2]
	s_cbranch_vccnz .LBB0_748
; %bb.749:                              ;   in Loop: Header=BB0_1 Depth=1
	s_add_co_i32 s8, s2, 0x176
	s_mov_b32 s9, s3
	s_wait_alu 0xfffe
	v_dual_mov_b32 v1, s8 :: v_dual_mov_b32 v2, s9
	global_store_b64 v0, v[1:2], s[6:7] scope:SCOPE_SYS
.LBB0_750:                              ;   Parent Loop BB0_1 Depth=1
                                        ; =>  This Inner Loop Header: Depth=2
	global_load_b64 v[1:2], v0, s[4:5] scope:SCOPE_SYS
	s_wait_loadcnt 0x0
	v_cmp_ne_u64_e32 vcc_lo, s[8:9], v[1:2]
	s_cbranch_vccnz .LBB0_750
; %bb.751:                              ;   in Loop: Header=BB0_1 Depth=1
	s_add_co_i32 s8, s2, 0x177
	s_mov_b32 s9, s3
	s_wait_alu 0xfffe
	v_dual_mov_b32 v1, s8 :: v_dual_mov_b32 v2, s9
	global_store_b64 v0, v[1:2], s[6:7] scope:SCOPE_SYS
.LBB0_752:                              ;   Parent Loop BB0_1 Depth=1
                                        ; =>  This Inner Loop Header: Depth=2
	global_load_b64 v[1:2], v0, s[4:5] scope:SCOPE_SYS
	s_wait_loadcnt 0x0
	v_cmp_ne_u64_e32 vcc_lo, s[8:9], v[1:2]
	s_cbranch_vccnz .LBB0_752
; %bb.753:                              ;   in Loop: Header=BB0_1 Depth=1
	s_add_co_i32 s8, s2, 0x178
	s_mov_b32 s9, s3
	s_wait_alu 0xfffe
	v_dual_mov_b32 v1, s8 :: v_dual_mov_b32 v2, s9
	global_store_b64 v0, v[1:2], s[6:7] scope:SCOPE_SYS
.LBB0_754:                              ;   Parent Loop BB0_1 Depth=1
                                        ; =>  This Inner Loop Header: Depth=2
	global_load_b64 v[1:2], v0, s[4:5] scope:SCOPE_SYS
	s_wait_loadcnt 0x0
	v_cmp_ne_u64_e32 vcc_lo, s[8:9], v[1:2]
	s_cbranch_vccnz .LBB0_754
; %bb.755:                              ;   in Loop: Header=BB0_1 Depth=1
	s_add_co_i32 s8, s2, 0x179
	s_mov_b32 s9, s3
	s_wait_alu 0xfffe
	v_dual_mov_b32 v1, s8 :: v_dual_mov_b32 v2, s9
	global_store_b64 v0, v[1:2], s[6:7] scope:SCOPE_SYS
.LBB0_756:                              ;   Parent Loop BB0_1 Depth=1
                                        ; =>  This Inner Loop Header: Depth=2
	global_load_b64 v[1:2], v0, s[4:5] scope:SCOPE_SYS
	s_wait_loadcnt 0x0
	v_cmp_ne_u64_e32 vcc_lo, s[8:9], v[1:2]
	s_cbranch_vccnz .LBB0_756
; %bb.757:                              ;   in Loop: Header=BB0_1 Depth=1
	s_add_co_i32 s8, s2, 0x17a
	s_mov_b32 s9, s3
	s_wait_alu 0xfffe
	v_dual_mov_b32 v1, s8 :: v_dual_mov_b32 v2, s9
	global_store_b64 v0, v[1:2], s[6:7] scope:SCOPE_SYS
.LBB0_758:                              ;   Parent Loop BB0_1 Depth=1
                                        ; =>  This Inner Loop Header: Depth=2
	global_load_b64 v[1:2], v0, s[4:5] scope:SCOPE_SYS
	s_wait_loadcnt 0x0
	v_cmp_ne_u64_e32 vcc_lo, s[8:9], v[1:2]
	s_cbranch_vccnz .LBB0_758
; %bb.759:                              ;   in Loop: Header=BB0_1 Depth=1
	s_add_co_i32 s8, s2, 0x17b
	s_mov_b32 s9, s3
	s_wait_alu 0xfffe
	v_dual_mov_b32 v1, s8 :: v_dual_mov_b32 v2, s9
	global_store_b64 v0, v[1:2], s[6:7] scope:SCOPE_SYS
.LBB0_760:                              ;   Parent Loop BB0_1 Depth=1
                                        ; =>  This Inner Loop Header: Depth=2
	global_load_b64 v[1:2], v0, s[4:5] scope:SCOPE_SYS
	s_wait_loadcnt 0x0
	v_cmp_ne_u64_e32 vcc_lo, s[8:9], v[1:2]
	s_cbranch_vccnz .LBB0_760
; %bb.761:                              ;   in Loop: Header=BB0_1 Depth=1
	s_add_co_i32 s8, s2, 0x17c
	s_mov_b32 s9, s3
	s_wait_alu 0xfffe
	v_dual_mov_b32 v1, s8 :: v_dual_mov_b32 v2, s9
	global_store_b64 v0, v[1:2], s[6:7] scope:SCOPE_SYS
.LBB0_762:                              ;   Parent Loop BB0_1 Depth=1
                                        ; =>  This Inner Loop Header: Depth=2
	global_load_b64 v[1:2], v0, s[4:5] scope:SCOPE_SYS
	s_wait_loadcnt 0x0
	v_cmp_ne_u64_e32 vcc_lo, s[8:9], v[1:2]
	s_cbranch_vccnz .LBB0_762
; %bb.763:                              ;   in Loop: Header=BB0_1 Depth=1
	s_add_co_i32 s8, s2, 0x17d
	s_mov_b32 s9, s3
	s_wait_alu 0xfffe
	v_dual_mov_b32 v1, s8 :: v_dual_mov_b32 v2, s9
	global_store_b64 v0, v[1:2], s[6:7] scope:SCOPE_SYS
.LBB0_764:                              ;   Parent Loop BB0_1 Depth=1
                                        ; =>  This Inner Loop Header: Depth=2
	global_load_b64 v[1:2], v0, s[4:5] scope:SCOPE_SYS
	s_wait_loadcnt 0x0
	v_cmp_ne_u64_e32 vcc_lo, s[8:9], v[1:2]
	s_cbranch_vccnz .LBB0_764
; %bb.765:                              ;   in Loop: Header=BB0_1 Depth=1
	s_add_co_i32 s8, s2, 0x17e
	s_mov_b32 s9, s3
	s_wait_alu 0xfffe
	v_dual_mov_b32 v1, s8 :: v_dual_mov_b32 v2, s9
	global_store_b64 v0, v[1:2], s[6:7] scope:SCOPE_SYS
.LBB0_766:                              ;   Parent Loop BB0_1 Depth=1
                                        ; =>  This Inner Loop Header: Depth=2
	global_load_b64 v[1:2], v0, s[4:5] scope:SCOPE_SYS
	s_wait_loadcnt 0x0
	v_cmp_ne_u64_e32 vcc_lo, s[8:9], v[1:2]
	s_cbranch_vccnz .LBB0_766
; %bb.767:                              ;   in Loop: Header=BB0_1 Depth=1
	s_add_co_i32 s8, s2, 0x17f
	s_mov_b32 s9, s3
	s_wait_alu 0xfffe
	v_dual_mov_b32 v1, s8 :: v_dual_mov_b32 v2, s9
	global_store_b64 v0, v[1:2], s[6:7] scope:SCOPE_SYS
.LBB0_768:                              ;   Parent Loop BB0_1 Depth=1
                                        ; =>  This Inner Loop Header: Depth=2
	global_load_b64 v[1:2], v0, s[4:5] scope:SCOPE_SYS
	s_wait_loadcnt 0x0
	v_cmp_ne_u64_e32 vcc_lo, s[8:9], v[1:2]
	s_cbranch_vccnz .LBB0_768
; %bb.769:                              ;   in Loop: Header=BB0_1 Depth=1
	s_add_co_i32 s8, s2, 0x180
	s_mov_b32 s9, s3
	s_wait_alu 0xfffe
	v_dual_mov_b32 v1, s8 :: v_dual_mov_b32 v2, s9
	global_store_b64 v0, v[1:2], s[6:7] scope:SCOPE_SYS
.LBB0_770:                              ;   Parent Loop BB0_1 Depth=1
                                        ; =>  This Inner Loop Header: Depth=2
	global_load_b64 v[1:2], v0, s[4:5] scope:SCOPE_SYS
	s_wait_loadcnt 0x0
	v_cmp_ne_u64_e32 vcc_lo, s[8:9], v[1:2]
	s_cbranch_vccnz .LBB0_770
; %bb.771:                              ;   in Loop: Header=BB0_1 Depth=1
	s_add_co_i32 s8, s2, 0x181
	s_mov_b32 s9, s3
	s_wait_alu 0xfffe
	v_dual_mov_b32 v1, s8 :: v_dual_mov_b32 v2, s9
	global_store_b64 v0, v[1:2], s[6:7] scope:SCOPE_SYS
.LBB0_772:                              ;   Parent Loop BB0_1 Depth=1
                                        ; =>  This Inner Loop Header: Depth=2
	global_load_b64 v[1:2], v0, s[4:5] scope:SCOPE_SYS
	s_wait_loadcnt 0x0
	v_cmp_ne_u64_e32 vcc_lo, s[8:9], v[1:2]
	s_cbranch_vccnz .LBB0_772
; %bb.773:                              ;   in Loop: Header=BB0_1 Depth=1
	s_add_co_i32 s8, s2, 0x182
	s_mov_b32 s9, s3
	s_wait_alu 0xfffe
	v_dual_mov_b32 v1, s8 :: v_dual_mov_b32 v2, s9
	global_store_b64 v0, v[1:2], s[6:7] scope:SCOPE_SYS
.LBB0_774:                              ;   Parent Loop BB0_1 Depth=1
                                        ; =>  This Inner Loop Header: Depth=2
	global_load_b64 v[1:2], v0, s[4:5] scope:SCOPE_SYS
	s_wait_loadcnt 0x0
	v_cmp_ne_u64_e32 vcc_lo, s[8:9], v[1:2]
	s_cbranch_vccnz .LBB0_774
; %bb.775:                              ;   in Loop: Header=BB0_1 Depth=1
	s_add_co_i32 s8, s2, 0x183
	s_mov_b32 s9, s3
	s_wait_alu 0xfffe
	v_dual_mov_b32 v1, s8 :: v_dual_mov_b32 v2, s9
	global_store_b64 v0, v[1:2], s[6:7] scope:SCOPE_SYS
.LBB0_776:                              ;   Parent Loop BB0_1 Depth=1
                                        ; =>  This Inner Loop Header: Depth=2
	global_load_b64 v[1:2], v0, s[4:5] scope:SCOPE_SYS
	s_wait_loadcnt 0x0
	v_cmp_ne_u64_e32 vcc_lo, s[8:9], v[1:2]
	s_cbranch_vccnz .LBB0_776
; %bb.777:                              ;   in Loop: Header=BB0_1 Depth=1
	s_add_co_i32 s8, s2, 0x184
	s_mov_b32 s9, s3
	s_wait_alu 0xfffe
	v_dual_mov_b32 v1, s8 :: v_dual_mov_b32 v2, s9
	global_store_b64 v0, v[1:2], s[6:7] scope:SCOPE_SYS
.LBB0_778:                              ;   Parent Loop BB0_1 Depth=1
                                        ; =>  This Inner Loop Header: Depth=2
	global_load_b64 v[1:2], v0, s[4:5] scope:SCOPE_SYS
	s_wait_loadcnt 0x0
	v_cmp_ne_u64_e32 vcc_lo, s[8:9], v[1:2]
	s_cbranch_vccnz .LBB0_778
; %bb.779:                              ;   in Loop: Header=BB0_1 Depth=1
	s_add_co_i32 s8, s2, 0x185
	s_mov_b32 s9, s3
	s_wait_alu 0xfffe
	v_dual_mov_b32 v1, s8 :: v_dual_mov_b32 v2, s9
	global_store_b64 v0, v[1:2], s[6:7] scope:SCOPE_SYS
.LBB0_780:                              ;   Parent Loop BB0_1 Depth=1
                                        ; =>  This Inner Loop Header: Depth=2
	global_load_b64 v[1:2], v0, s[4:5] scope:SCOPE_SYS
	s_wait_loadcnt 0x0
	v_cmp_ne_u64_e32 vcc_lo, s[8:9], v[1:2]
	s_cbranch_vccnz .LBB0_780
; %bb.781:                              ;   in Loop: Header=BB0_1 Depth=1
	s_add_co_i32 s8, s2, 0x186
	s_mov_b32 s9, s3
	s_wait_alu 0xfffe
	v_dual_mov_b32 v1, s8 :: v_dual_mov_b32 v2, s9
	global_store_b64 v0, v[1:2], s[6:7] scope:SCOPE_SYS
.LBB0_782:                              ;   Parent Loop BB0_1 Depth=1
                                        ; =>  This Inner Loop Header: Depth=2
	global_load_b64 v[1:2], v0, s[4:5] scope:SCOPE_SYS
	s_wait_loadcnt 0x0
	v_cmp_ne_u64_e32 vcc_lo, s[8:9], v[1:2]
	s_cbranch_vccnz .LBB0_782
; %bb.783:                              ;   in Loop: Header=BB0_1 Depth=1
	s_add_co_i32 s8, s2, 0x187
	s_mov_b32 s9, s3
	s_wait_alu 0xfffe
	v_dual_mov_b32 v1, s8 :: v_dual_mov_b32 v2, s9
	global_store_b64 v0, v[1:2], s[6:7] scope:SCOPE_SYS
.LBB0_784:                              ;   Parent Loop BB0_1 Depth=1
                                        ; =>  This Inner Loop Header: Depth=2
	global_load_b64 v[1:2], v0, s[4:5] scope:SCOPE_SYS
	s_wait_loadcnt 0x0
	v_cmp_ne_u64_e32 vcc_lo, s[8:9], v[1:2]
	s_cbranch_vccnz .LBB0_784
; %bb.785:                              ;   in Loop: Header=BB0_1 Depth=1
	s_add_co_i32 s8, s2, 0x188
	s_mov_b32 s9, s3
	s_wait_alu 0xfffe
	v_dual_mov_b32 v1, s8 :: v_dual_mov_b32 v2, s9
	global_store_b64 v0, v[1:2], s[6:7] scope:SCOPE_SYS
.LBB0_786:                              ;   Parent Loop BB0_1 Depth=1
                                        ; =>  This Inner Loop Header: Depth=2
	global_load_b64 v[1:2], v0, s[4:5] scope:SCOPE_SYS
	s_wait_loadcnt 0x0
	v_cmp_ne_u64_e32 vcc_lo, s[8:9], v[1:2]
	s_cbranch_vccnz .LBB0_786
; %bb.787:                              ;   in Loop: Header=BB0_1 Depth=1
	s_add_co_i32 s8, s2, 0x189
	s_mov_b32 s9, s3
	s_wait_alu 0xfffe
	v_dual_mov_b32 v1, s8 :: v_dual_mov_b32 v2, s9
	global_store_b64 v0, v[1:2], s[6:7] scope:SCOPE_SYS
.LBB0_788:                              ;   Parent Loop BB0_1 Depth=1
                                        ; =>  This Inner Loop Header: Depth=2
	global_load_b64 v[1:2], v0, s[4:5] scope:SCOPE_SYS
	s_wait_loadcnt 0x0
	v_cmp_ne_u64_e32 vcc_lo, s[8:9], v[1:2]
	s_cbranch_vccnz .LBB0_788
; %bb.789:                              ;   in Loop: Header=BB0_1 Depth=1
	s_add_co_i32 s8, s2, 0x18a
	s_mov_b32 s9, s3
	s_wait_alu 0xfffe
	v_dual_mov_b32 v1, s8 :: v_dual_mov_b32 v2, s9
	global_store_b64 v0, v[1:2], s[6:7] scope:SCOPE_SYS
.LBB0_790:                              ;   Parent Loop BB0_1 Depth=1
                                        ; =>  This Inner Loop Header: Depth=2
	global_load_b64 v[1:2], v0, s[4:5] scope:SCOPE_SYS
	s_wait_loadcnt 0x0
	v_cmp_ne_u64_e32 vcc_lo, s[8:9], v[1:2]
	s_cbranch_vccnz .LBB0_790
; %bb.791:                              ;   in Loop: Header=BB0_1 Depth=1
	s_add_co_i32 s8, s2, 0x18b
	s_mov_b32 s9, s3
	s_wait_alu 0xfffe
	v_dual_mov_b32 v1, s8 :: v_dual_mov_b32 v2, s9
	global_store_b64 v0, v[1:2], s[6:7] scope:SCOPE_SYS
.LBB0_792:                              ;   Parent Loop BB0_1 Depth=1
                                        ; =>  This Inner Loop Header: Depth=2
	global_load_b64 v[1:2], v0, s[4:5] scope:SCOPE_SYS
	s_wait_loadcnt 0x0
	v_cmp_ne_u64_e32 vcc_lo, s[8:9], v[1:2]
	s_cbranch_vccnz .LBB0_792
; %bb.793:                              ;   in Loop: Header=BB0_1 Depth=1
	s_add_co_i32 s8, s2, 0x18c
	s_mov_b32 s9, s3
	s_wait_alu 0xfffe
	v_dual_mov_b32 v1, s8 :: v_dual_mov_b32 v2, s9
	global_store_b64 v0, v[1:2], s[6:7] scope:SCOPE_SYS
.LBB0_794:                              ;   Parent Loop BB0_1 Depth=1
                                        ; =>  This Inner Loop Header: Depth=2
	global_load_b64 v[1:2], v0, s[4:5] scope:SCOPE_SYS
	s_wait_loadcnt 0x0
	v_cmp_ne_u64_e32 vcc_lo, s[8:9], v[1:2]
	s_cbranch_vccnz .LBB0_794
; %bb.795:                              ;   in Loop: Header=BB0_1 Depth=1
	s_add_co_i32 s8, s2, 0x18d
	s_mov_b32 s9, s3
	s_wait_alu 0xfffe
	v_dual_mov_b32 v1, s8 :: v_dual_mov_b32 v2, s9
	global_store_b64 v0, v[1:2], s[6:7] scope:SCOPE_SYS
.LBB0_796:                              ;   Parent Loop BB0_1 Depth=1
                                        ; =>  This Inner Loop Header: Depth=2
	global_load_b64 v[1:2], v0, s[4:5] scope:SCOPE_SYS
	s_wait_loadcnt 0x0
	v_cmp_ne_u64_e32 vcc_lo, s[8:9], v[1:2]
	s_cbranch_vccnz .LBB0_796
; %bb.797:                              ;   in Loop: Header=BB0_1 Depth=1
	s_add_co_i32 s8, s2, 0x18e
	s_mov_b32 s9, s3
	s_wait_alu 0xfffe
	v_dual_mov_b32 v1, s8 :: v_dual_mov_b32 v2, s9
	global_store_b64 v0, v[1:2], s[6:7] scope:SCOPE_SYS
.LBB0_798:                              ;   Parent Loop BB0_1 Depth=1
                                        ; =>  This Inner Loop Header: Depth=2
	global_load_b64 v[1:2], v0, s[4:5] scope:SCOPE_SYS
	s_wait_loadcnt 0x0
	v_cmp_ne_u64_e32 vcc_lo, s[8:9], v[1:2]
	s_cbranch_vccnz .LBB0_798
; %bb.799:                              ;   in Loop: Header=BB0_1 Depth=1
	s_add_co_i32 s8, s2, 0x18f
	s_mov_b32 s9, s3
	s_wait_alu 0xfffe
	v_dual_mov_b32 v1, s8 :: v_dual_mov_b32 v2, s9
	global_store_b64 v0, v[1:2], s[6:7] scope:SCOPE_SYS
.LBB0_800:                              ;   Parent Loop BB0_1 Depth=1
                                        ; =>  This Inner Loop Header: Depth=2
	global_load_b64 v[1:2], v0, s[4:5] scope:SCOPE_SYS
	s_wait_loadcnt 0x0
	v_cmp_ne_u64_e32 vcc_lo, s[8:9], v[1:2]
	s_cbranch_vccnz .LBB0_800
; %bb.801:                              ;   in Loop: Header=BB0_1 Depth=1
	s_add_co_i32 s8, s2, 0x190
	s_mov_b32 s9, s3
	s_wait_alu 0xfffe
	v_dual_mov_b32 v1, s8 :: v_dual_mov_b32 v2, s9
	global_store_b64 v0, v[1:2], s[6:7] scope:SCOPE_SYS
.LBB0_802:                              ;   Parent Loop BB0_1 Depth=1
                                        ; =>  This Inner Loop Header: Depth=2
	global_load_b64 v[1:2], v0, s[4:5] scope:SCOPE_SYS
	s_wait_loadcnt 0x0
	v_cmp_ne_u64_e32 vcc_lo, s[8:9], v[1:2]
	s_cbranch_vccnz .LBB0_802
; %bb.803:                              ;   in Loop: Header=BB0_1 Depth=1
	s_add_co_i32 s8, s2, 0x191
	s_mov_b32 s9, s3
	s_wait_alu 0xfffe
	v_dual_mov_b32 v1, s8 :: v_dual_mov_b32 v2, s9
	global_store_b64 v0, v[1:2], s[6:7] scope:SCOPE_SYS
.LBB0_804:                              ;   Parent Loop BB0_1 Depth=1
                                        ; =>  This Inner Loop Header: Depth=2
	global_load_b64 v[1:2], v0, s[4:5] scope:SCOPE_SYS
	s_wait_loadcnt 0x0
	v_cmp_ne_u64_e32 vcc_lo, s[8:9], v[1:2]
	s_cbranch_vccnz .LBB0_804
; %bb.805:                              ;   in Loop: Header=BB0_1 Depth=1
	s_add_co_i32 s8, s2, 0x192
	s_mov_b32 s9, s3
	s_wait_alu 0xfffe
	v_dual_mov_b32 v1, s8 :: v_dual_mov_b32 v2, s9
	global_store_b64 v0, v[1:2], s[6:7] scope:SCOPE_SYS
.LBB0_806:                              ;   Parent Loop BB0_1 Depth=1
                                        ; =>  This Inner Loop Header: Depth=2
	global_load_b64 v[1:2], v0, s[4:5] scope:SCOPE_SYS
	s_wait_loadcnt 0x0
	v_cmp_ne_u64_e32 vcc_lo, s[8:9], v[1:2]
	s_cbranch_vccnz .LBB0_806
; %bb.807:                              ;   in Loop: Header=BB0_1 Depth=1
	s_add_co_i32 s8, s2, 0x193
	s_mov_b32 s9, s3
	s_wait_alu 0xfffe
	v_dual_mov_b32 v1, s8 :: v_dual_mov_b32 v2, s9
	global_store_b64 v0, v[1:2], s[6:7] scope:SCOPE_SYS
.LBB0_808:                              ;   Parent Loop BB0_1 Depth=1
                                        ; =>  This Inner Loop Header: Depth=2
	global_load_b64 v[1:2], v0, s[4:5] scope:SCOPE_SYS
	s_wait_loadcnt 0x0
	v_cmp_ne_u64_e32 vcc_lo, s[8:9], v[1:2]
	s_cbranch_vccnz .LBB0_808
; %bb.809:                              ;   in Loop: Header=BB0_1 Depth=1
	s_add_co_i32 s8, s2, 0x194
	s_mov_b32 s9, s3
	s_wait_alu 0xfffe
	v_dual_mov_b32 v1, s8 :: v_dual_mov_b32 v2, s9
	global_store_b64 v0, v[1:2], s[6:7] scope:SCOPE_SYS
.LBB0_810:                              ;   Parent Loop BB0_1 Depth=1
                                        ; =>  This Inner Loop Header: Depth=2
	global_load_b64 v[1:2], v0, s[4:5] scope:SCOPE_SYS
	s_wait_loadcnt 0x0
	v_cmp_ne_u64_e32 vcc_lo, s[8:9], v[1:2]
	s_cbranch_vccnz .LBB0_810
; %bb.811:                              ;   in Loop: Header=BB0_1 Depth=1
	s_add_co_i32 s8, s2, 0x195
	s_mov_b32 s9, s3
	s_wait_alu 0xfffe
	v_dual_mov_b32 v1, s8 :: v_dual_mov_b32 v2, s9
	global_store_b64 v0, v[1:2], s[6:7] scope:SCOPE_SYS
.LBB0_812:                              ;   Parent Loop BB0_1 Depth=1
                                        ; =>  This Inner Loop Header: Depth=2
	global_load_b64 v[1:2], v0, s[4:5] scope:SCOPE_SYS
	s_wait_loadcnt 0x0
	v_cmp_ne_u64_e32 vcc_lo, s[8:9], v[1:2]
	s_cbranch_vccnz .LBB0_812
; %bb.813:                              ;   in Loop: Header=BB0_1 Depth=1
	s_add_co_i32 s8, s2, 0x196
	s_mov_b32 s9, s3
	s_wait_alu 0xfffe
	v_dual_mov_b32 v1, s8 :: v_dual_mov_b32 v2, s9
	global_store_b64 v0, v[1:2], s[6:7] scope:SCOPE_SYS
.LBB0_814:                              ;   Parent Loop BB0_1 Depth=1
                                        ; =>  This Inner Loop Header: Depth=2
	global_load_b64 v[1:2], v0, s[4:5] scope:SCOPE_SYS
	s_wait_loadcnt 0x0
	v_cmp_ne_u64_e32 vcc_lo, s[8:9], v[1:2]
	s_cbranch_vccnz .LBB0_814
; %bb.815:                              ;   in Loop: Header=BB0_1 Depth=1
	s_add_co_i32 s8, s2, 0x197
	s_mov_b32 s9, s3
	s_wait_alu 0xfffe
	v_dual_mov_b32 v1, s8 :: v_dual_mov_b32 v2, s9
	global_store_b64 v0, v[1:2], s[6:7] scope:SCOPE_SYS
.LBB0_816:                              ;   Parent Loop BB0_1 Depth=1
                                        ; =>  This Inner Loop Header: Depth=2
	global_load_b64 v[1:2], v0, s[4:5] scope:SCOPE_SYS
	s_wait_loadcnt 0x0
	v_cmp_ne_u64_e32 vcc_lo, s[8:9], v[1:2]
	s_cbranch_vccnz .LBB0_816
; %bb.817:                              ;   in Loop: Header=BB0_1 Depth=1
	s_add_co_i32 s8, s2, 0x198
	s_mov_b32 s9, s3
	s_wait_alu 0xfffe
	v_dual_mov_b32 v1, s8 :: v_dual_mov_b32 v2, s9
	global_store_b64 v0, v[1:2], s[6:7] scope:SCOPE_SYS
.LBB0_818:                              ;   Parent Loop BB0_1 Depth=1
                                        ; =>  This Inner Loop Header: Depth=2
	global_load_b64 v[1:2], v0, s[4:5] scope:SCOPE_SYS
	s_wait_loadcnt 0x0
	v_cmp_ne_u64_e32 vcc_lo, s[8:9], v[1:2]
	s_cbranch_vccnz .LBB0_818
; %bb.819:                              ;   in Loop: Header=BB0_1 Depth=1
	s_add_co_i32 s8, s2, 0x199
	s_mov_b32 s9, s3
	s_wait_alu 0xfffe
	v_dual_mov_b32 v1, s8 :: v_dual_mov_b32 v2, s9
	global_store_b64 v0, v[1:2], s[6:7] scope:SCOPE_SYS
.LBB0_820:                              ;   Parent Loop BB0_1 Depth=1
                                        ; =>  This Inner Loop Header: Depth=2
	global_load_b64 v[1:2], v0, s[4:5] scope:SCOPE_SYS
	s_wait_loadcnt 0x0
	v_cmp_ne_u64_e32 vcc_lo, s[8:9], v[1:2]
	s_cbranch_vccnz .LBB0_820
; %bb.821:                              ;   in Loop: Header=BB0_1 Depth=1
	s_add_co_i32 s8, s2, 0x19a
	s_mov_b32 s9, s3
	s_wait_alu 0xfffe
	v_dual_mov_b32 v1, s8 :: v_dual_mov_b32 v2, s9
	global_store_b64 v0, v[1:2], s[6:7] scope:SCOPE_SYS
.LBB0_822:                              ;   Parent Loop BB0_1 Depth=1
                                        ; =>  This Inner Loop Header: Depth=2
	global_load_b64 v[1:2], v0, s[4:5] scope:SCOPE_SYS
	s_wait_loadcnt 0x0
	v_cmp_ne_u64_e32 vcc_lo, s[8:9], v[1:2]
	s_cbranch_vccnz .LBB0_822
; %bb.823:                              ;   in Loop: Header=BB0_1 Depth=1
	s_add_co_i32 s8, s2, 0x19b
	s_mov_b32 s9, s3
	s_wait_alu 0xfffe
	v_dual_mov_b32 v1, s8 :: v_dual_mov_b32 v2, s9
	global_store_b64 v0, v[1:2], s[6:7] scope:SCOPE_SYS
.LBB0_824:                              ;   Parent Loop BB0_1 Depth=1
                                        ; =>  This Inner Loop Header: Depth=2
	global_load_b64 v[1:2], v0, s[4:5] scope:SCOPE_SYS
	s_wait_loadcnt 0x0
	v_cmp_ne_u64_e32 vcc_lo, s[8:9], v[1:2]
	s_cbranch_vccnz .LBB0_824
; %bb.825:                              ;   in Loop: Header=BB0_1 Depth=1
	s_add_co_i32 s8, s2, 0x19c
	s_mov_b32 s9, s3
	s_wait_alu 0xfffe
	v_dual_mov_b32 v1, s8 :: v_dual_mov_b32 v2, s9
	global_store_b64 v0, v[1:2], s[6:7] scope:SCOPE_SYS
.LBB0_826:                              ;   Parent Loop BB0_1 Depth=1
                                        ; =>  This Inner Loop Header: Depth=2
	global_load_b64 v[1:2], v0, s[4:5] scope:SCOPE_SYS
	s_wait_loadcnt 0x0
	v_cmp_ne_u64_e32 vcc_lo, s[8:9], v[1:2]
	s_cbranch_vccnz .LBB0_826
; %bb.827:                              ;   in Loop: Header=BB0_1 Depth=1
	s_add_co_i32 s8, s2, 0x19d
	s_mov_b32 s9, s3
	s_wait_alu 0xfffe
	v_dual_mov_b32 v1, s8 :: v_dual_mov_b32 v2, s9
	global_store_b64 v0, v[1:2], s[6:7] scope:SCOPE_SYS
.LBB0_828:                              ;   Parent Loop BB0_1 Depth=1
                                        ; =>  This Inner Loop Header: Depth=2
	global_load_b64 v[1:2], v0, s[4:5] scope:SCOPE_SYS
	s_wait_loadcnt 0x0
	v_cmp_ne_u64_e32 vcc_lo, s[8:9], v[1:2]
	s_cbranch_vccnz .LBB0_828
; %bb.829:                              ;   in Loop: Header=BB0_1 Depth=1
	s_add_co_i32 s8, s2, 0x19e
	s_mov_b32 s9, s3
	s_wait_alu 0xfffe
	v_dual_mov_b32 v1, s8 :: v_dual_mov_b32 v2, s9
	global_store_b64 v0, v[1:2], s[6:7] scope:SCOPE_SYS
.LBB0_830:                              ;   Parent Loop BB0_1 Depth=1
                                        ; =>  This Inner Loop Header: Depth=2
	global_load_b64 v[1:2], v0, s[4:5] scope:SCOPE_SYS
	s_wait_loadcnt 0x0
	v_cmp_ne_u64_e32 vcc_lo, s[8:9], v[1:2]
	s_cbranch_vccnz .LBB0_830
; %bb.831:                              ;   in Loop: Header=BB0_1 Depth=1
	s_add_co_i32 s8, s2, 0x19f
	s_mov_b32 s9, s3
	s_wait_alu 0xfffe
	v_dual_mov_b32 v1, s8 :: v_dual_mov_b32 v2, s9
	global_store_b64 v0, v[1:2], s[6:7] scope:SCOPE_SYS
.LBB0_832:                              ;   Parent Loop BB0_1 Depth=1
                                        ; =>  This Inner Loop Header: Depth=2
	global_load_b64 v[1:2], v0, s[4:5] scope:SCOPE_SYS
	s_wait_loadcnt 0x0
	v_cmp_ne_u64_e32 vcc_lo, s[8:9], v[1:2]
	s_cbranch_vccnz .LBB0_832
; %bb.833:                              ;   in Loop: Header=BB0_1 Depth=1
	s_add_co_i32 s8, s2, 0x1a0
	s_mov_b32 s9, s3
	s_wait_alu 0xfffe
	v_dual_mov_b32 v1, s8 :: v_dual_mov_b32 v2, s9
	global_store_b64 v0, v[1:2], s[6:7] scope:SCOPE_SYS
.LBB0_834:                              ;   Parent Loop BB0_1 Depth=1
                                        ; =>  This Inner Loop Header: Depth=2
	global_load_b64 v[1:2], v0, s[4:5] scope:SCOPE_SYS
	s_wait_loadcnt 0x0
	v_cmp_ne_u64_e32 vcc_lo, s[8:9], v[1:2]
	s_cbranch_vccnz .LBB0_834
; %bb.835:                              ;   in Loop: Header=BB0_1 Depth=1
	s_add_co_i32 s8, s2, 0x1a1
	s_mov_b32 s9, s3
	s_wait_alu 0xfffe
	v_dual_mov_b32 v1, s8 :: v_dual_mov_b32 v2, s9
	global_store_b64 v0, v[1:2], s[6:7] scope:SCOPE_SYS
.LBB0_836:                              ;   Parent Loop BB0_1 Depth=1
                                        ; =>  This Inner Loop Header: Depth=2
	global_load_b64 v[1:2], v0, s[4:5] scope:SCOPE_SYS
	s_wait_loadcnt 0x0
	v_cmp_ne_u64_e32 vcc_lo, s[8:9], v[1:2]
	s_cbranch_vccnz .LBB0_836
; %bb.837:                              ;   in Loop: Header=BB0_1 Depth=1
	s_add_co_i32 s8, s2, 0x1a2
	s_mov_b32 s9, s3
	s_wait_alu 0xfffe
	v_dual_mov_b32 v1, s8 :: v_dual_mov_b32 v2, s9
	global_store_b64 v0, v[1:2], s[6:7] scope:SCOPE_SYS
.LBB0_838:                              ;   Parent Loop BB0_1 Depth=1
                                        ; =>  This Inner Loop Header: Depth=2
	global_load_b64 v[1:2], v0, s[4:5] scope:SCOPE_SYS
	s_wait_loadcnt 0x0
	v_cmp_ne_u64_e32 vcc_lo, s[8:9], v[1:2]
	s_cbranch_vccnz .LBB0_838
; %bb.839:                              ;   in Loop: Header=BB0_1 Depth=1
	s_add_co_i32 s8, s2, 0x1a3
	s_mov_b32 s9, s3
	s_wait_alu 0xfffe
	v_dual_mov_b32 v1, s8 :: v_dual_mov_b32 v2, s9
	global_store_b64 v0, v[1:2], s[6:7] scope:SCOPE_SYS
.LBB0_840:                              ;   Parent Loop BB0_1 Depth=1
                                        ; =>  This Inner Loop Header: Depth=2
	global_load_b64 v[1:2], v0, s[4:5] scope:SCOPE_SYS
	s_wait_loadcnt 0x0
	v_cmp_ne_u64_e32 vcc_lo, s[8:9], v[1:2]
	s_cbranch_vccnz .LBB0_840
; %bb.841:                              ;   in Loop: Header=BB0_1 Depth=1
	s_add_co_i32 s8, s2, 0x1a4
	s_mov_b32 s9, s3
	s_wait_alu 0xfffe
	v_dual_mov_b32 v1, s8 :: v_dual_mov_b32 v2, s9
	global_store_b64 v0, v[1:2], s[6:7] scope:SCOPE_SYS
.LBB0_842:                              ;   Parent Loop BB0_1 Depth=1
                                        ; =>  This Inner Loop Header: Depth=2
	global_load_b64 v[1:2], v0, s[4:5] scope:SCOPE_SYS
	s_wait_loadcnt 0x0
	v_cmp_ne_u64_e32 vcc_lo, s[8:9], v[1:2]
	s_cbranch_vccnz .LBB0_842
; %bb.843:                              ;   in Loop: Header=BB0_1 Depth=1
	s_add_co_i32 s8, s2, 0x1a5
	s_mov_b32 s9, s3
	s_wait_alu 0xfffe
	v_dual_mov_b32 v1, s8 :: v_dual_mov_b32 v2, s9
	global_store_b64 v0, v[1:2], s[6:7] scope:SCOPE_SYS
.LBB0_844:                              ;   Parent Loop BB0_1 Depth=1
                                        ; =>  This Inner Loop Header: Depth=2
	global_load_b64 v[1:2], v0, s[4:5] scope:SCOPE_SYS
	s_wait_loadcnt 0x0
	v_cmp_ne_u64_e32 vcc_lo, s[8:9], v[1:2]
	s_cbranch_vccnz .LBB0_844
; %bb.845:                              ;   in Loop: Header=BB0_1 Depth=1
	s_add_co_i32 s8, s2, 0x1a6
	s_mov_b32 s9, s3
	s_wait_alu 0xfffe
	v_dual_mov_b32 v1, s8 :: v_dual_mov_b32 v2, s9
	global_store_b64 v0, v[1:2], s[6:7] scope:SCOPE_SYS
.LBB0_846:                              ;   Parent Loop BB0_1 Depth=1
                                        ; =>  This Inner Loop Header: Depth=2
	global_load_b64 v[1:2], v0, s[4:5] scope:SCOPE_SYS
	s_wait_loadcnt 0x0
	v_cmp_ne_u64_e32 vcc_lo, s[8:9], v[1:2]
	s_cbranch_vccnz .LBB0_846
; %bb.847:                              ;   in Loop: Header=BB0_1 Depth=1
	s_add_co_i32 s8, s2, 0x1a7
	s_mov_b32 s9, s3
	s_wait_alu 0xfffe
	v_dual_mov_b32 v1, s8 :: v_dual_mov_b32 v2, s9
	global_store_b64 v0, v[1:2], s[6:7] scope:SCOPE_SYS
.LBB0_848:                              ;   Parent Loop BB0_1 Depth=1
                                        ; =>  This Inner Loop Header: Depth=2
	global_load_b64 v[1:2], v0, s[4:5] scope:SCOPE_SYS
	s_wait_loadcnt 0x0
	v_cmp_ne_u64_e32 vcc_lo, s[8:9], v[1:2]
	s_cbranch_vccnz .LBB0_848
; %bb.849:                              ;   in Loop: Header=BB0_1 Depth=1
	s_add_co_i32 s8, s2, 0x1a8
	s_mov_b32 s9, s3
	s_wait_alu 0xfffe
	v_dual_mov_b32 v1, s8 :: v_dual_mov_b32 v2, s9
	global_store_b64 v0, v[1:2], s[6:7] scope:SCOPE_SYS
.LBB0_850:                              ;   Parent Loop BB0_1 Depth=1
                                        ; =>  This Inner Loop Header: Depth=2
	global_load_b64 v[1:2], v0, s[4:5] scope:SCOPE_SYS
	s_wait_loadcnt 0x0
	v_cmp_ne_u64_e32 vcc_lo, s[8:9], v[1:2]
	s_cbranch_vccnz .LBB0_850
; %bb.851:                              ;   in Loop: Header=BB0_1 Depth=1
	s_add_co_i32 s8, s2, 0x1a9
	s_mov_b32 s9, s3
	s_wait_alu 0xfffe
	v_dual_mov_b32 v1, s8 :: v_dual_mov_b32 v2, s9
	global_store_b64 v0, v[1:2], s[6:7] scope:SCOPE_SYS
.LBB0_852:                              ;   Parent Loop BB0_1 Depth=1
                                        ; =>  This Inner Loop Header: Depth=2
	global_load_b64 v[1:2], v0, s[4:5] scope:SCOPE_SYS
	s_wait_loadcnt 0x0
	v_cmp_ne_u64_e32 vcc_lo, s[8:9], v[1:2]
	s_cbranch_vccnz .LBB0_852
; %bb.853:                              ;   in Loop: Header=BB0_1 Depth=1
	s_add_co_i32 s8, s2, 0x1aa
	s_mov_b32 s9, s3
	s_wait_alu 0xfffe
	v_dual_mov_b32 v1, s8 :: v_dual_mov_b32 v2, s9
	global_store_b64 v0, v[1:2], s[6:7] scope:SCOPE_SYS
.LBB0_854:                              ;   Parent Loop BB0_1 Depth=1
                                        ; =>  This Inner Loop Header: Depth=2
	global_load_b64 v[1:2], v0, s[4:5] scope:SCOPE_SYS
	s_wait_loadcnt 0x0
	v_cmp_ne_u64_e32 vcc_lo, s[8:9], v[1:2]
	s_cbranch_vccnz .LBB0_854
; %bb.855:                              ;   in Loop: Header=BB0_1 Depth=1
	s_add_co_i32 s8, s2, 0x1ab
	s_mov_b32 s9, s3
	s_wait_alu 0xfffe
	v_dual_mov_b32 v1, s8 :: v_dual_mov_b32 v2, s9
	global_store_b64 v0, v[1:2], s[6:7] scope:SCOPE_SYS
.LBB0_856:                              ;   Parent Loop BB0_1 Depth=1
                                        ; =>  This Inner Loop Header: Depth=2
	global_load_b64 v[1:2], v0, s[4:5] scope:SCOPE_SYS
	s_wait_loadcnt 0x0
	v_cmp_ne_u64_e32 vcc_lo, s[8:9], v[1:2]
	s_cbranch_vccnz .LBB0_856
; %bb.857:                              ;   in Loop: Header=BB0_1 Depth=1
	s_add_co_i32 s8, s2, 0x1ac
	s_mov_b32 s9, s3
	s_wait_alu 0xfffe
	v_dual_mov_b32 v1, s8 :: v_dual_mov_b32 v2, s9
	global_store_b64 v0, v[1:2], s[6:7] scope:SCOPE_SYS
.LBB0_858:                              ;   Parent Loop BB0_1 Depth=1
                                        ; =>  This Inner Loop Header: Depth=2
	global_load_b64 v[1:2], v0, s[4:5] scope:SCOPE_SYS
	s_wait_loadcnt 0x0
	v_cmp_ne_u64_e32 vcc_lo, s[8:9], v[1:2]
	s_cbranch_vccnz .LBB0_858
; %bb.859:                              ;   in Loop: Header=BB0_1 Depth=1
	s_add_co_i32 s8, s2, 0x1ad
	s_mov_b32 s9, s3
	s_wait_alu 0xfffe
	v_dual_mov_b32 v1, s8 :: v_dual_mov_b32 v2, s9
	global_store_b64 v0, v[1:2], s[6:7] scope:SCOPE_SYS
.LBB0_860:                              ;   Parent Loop BB0_1 Depth=1
                                        ; =>  This Inner Loop Header: Depth=2
	global_load_b64 v[1:2], v0, s[4:5] scope:SCOPE_SYS
	s_wait_loadcnt 0x0
	v_cmp_ne_u64_e32 vcc_lo, s[8:9], v[1:2]
	s_cbranch_vccnz .LBB0_860
; %bb.861:                              ;   in Loop: Header=BB0_1 Depth=1
	s_add_co_i32 s8, s2, 0x1ae
	s_mov_b32 s9, s3
	s_wait_alu 0xfffe
	v_dual_mov_b32 v1, s8 :: v_dual_mov_b32 v2, s9
	global_store_b64 v0, v[1:2], s[6:7] scope:SCOPE_SYS
.LBB0_862:                              ;   Parent Loop BB0_1 Depth=1
                                        ; =>  This Inner Loop Header: Depth=2
	global_load_b64 v[1:2], v0, s[4:5] scope:SCOPE_SYS
	s_wait_loadcnt 0x0
	v_cmp_ne_u64_e32 vcc_lo, s[8:9], v[1:2]
	s_cbranch_vccnz .LBB0_862
; %bb.863:                              ;   in Loop: Header=BB0_1 Depth=1
	s_add_co_i32 s8, s2, 0x1af
	s_mov_b32 s9, s3
	s_wait_alu 0xfffe
	v_dual_mov_b32 v1, s8 :: v_dual_mov_b32 v2, s9
	global_store_b64 v0, v[1:2], s[6:7] scope:SCOPE_SYS
.LBB0_864:                              ;   Parent Loop BB0_1 Depth=1
                                        ; =>  This Inner Loop Header: Depth=2
	global_load_b64 v[1:2], v0, s[4:5] scope:SCOPE_SYS
	s_wait_loadcnt 0x0
	v_cmp_ne_u64_e32 vcc_lo, s[8:9], v[1:2]
	s_cbranch_vccnz .LBB0_864
; %bb.865:                              ;   in Loop: Header=BB0_1 Depth=1
	s_add_co_i32 s8, s2, 0x1b0
	s_mov_b32 s9, s3
	s_wait_alu 0xfffe
	v_dual_mov_b32 v1, s8 :: v_dual_mov_b32 v2, s9
	global_store_b64 v0, v[1:2], s[6:7] scope:SCOPE_SYS
.LBB0_866:                              ;   Parent Loop BB0_1 Depth=1
                                        ; =>  This Inner Loop Header: Depth=2
	global_load_b64 v[1:2], v0, s[4:5] scope:SCOPE_SYS
	s_wait_loadcnt 0x0
	v_cmp_ne_u64_e32 vcc_lo, s[8:9], v[1:2]
	s_cbranch_vccnz .LBB0_866
; %bb.867:                              ;   in Loop: Header=BB0_1 Depth=1
	s_add_co_i32 s8, s2, 0x1b1
	s_mov_b32 s9, s3
	s_wait_alu 0xfffe
	v_dual_mov_b32 v1, s8 :: v_dual_mov_b32 v2, s9
	global_store_b64 v0, v[1:2], s[6:7] scope:SCOPE_SYS
.LBB0_868:                              ;   Parent Loop BB0_1 Depth=1
                                        ; =>  This Inner Loop Header: Depth=2
	global_load_b64 v[1:2], v0, s[4:5] scope:SCOPE_SYS
	s_wait_loadcnt 0x0
	v_cmp_ne_u64_e32 vcc_lo, s[8:9], v[1:2]
	s_cbranch_vccnz .LBB0_868
; %bb.869:                              ;   in Loop: Header=BB0_1 Depth=1
	s_add_co_i32 s8, s2, 0x1b2
	s_mov_b32 s9, s3
	s_wait_alu 0xfffe
	v_dual_mov_b32 v1, s8 :: v_dual_mov_b32 v2, s9
	global_store_b64 v0, v[1:2], s[6:7] scope:SCOPE_SYS
.LBB0_870:                              ;   Parent Loop BB0_1 Depth=1
                                        ; =>  This Inner Loop Header: Depth=2
	global_load_b64 v[1:2], v0, s[4:5] scope:SCOPE_SYS
	s_wait_loadcnt 0x0
	v_cmp_ne_u64_e32 vcc_lo, s[8:9], v[1:2]
	s_cbranch_vccnz .LBB0_870
; %bb.871:                              ;   in Loop: Header=BB0_1 Depth=1
	s_add_co_i32 s8, s2, 0x1b3
	s_mov_b32 s9, s3
	s_wait_alu 0xfffe
	v_dual_mov_b32 v1, s8 :: v_dual_mov_b32 v2, s9
	global_store_b64 v0, v[1:2], s[6:7] scope:SCOPE_SYS
.LBB0_872:                              ;   Parent Loop BB0_1 Depth=1
                                        ; =>  This Inner Loop Header: Depth=2
	global_load_b64 v[1:2], v0, s[4:5] scope:SCOPE_SYS
	s_wait_loadcnt 0x0
	v_cmp_ne_u64_e32 vcc_lo, s[8:9], v[1:2]
	s_cbranch_vccnz .LBB0_872
; %bb.873:                              ;   in Loop: Header=BB0_1 Depth=1
	s_add_co_i32 s8, s2, 0x1b4
	s_mov_b32 s9, s3
	s_wait_alu 0xfffe
	v_dual_mov_b32 v1, s8 :: v_dual_mov_b32 v2, s9
	global_store_b64 v0, v[1:2], s[6:7] scope:SCOPE_SYS
.LBB0_874:                              ;   Parent Loop BB0_1 Depth=1
                                        ; =>  This Inner Loop Header: Depth=2
	global_load_b64 v[1:2], v0, s[4:5] scope:SCOPE_SYS
	s_wait_loadcnt 0x0
	v_cmp_ne_u64_e32 vcc_lo, s[8:9], v[1:2]
	s_cbranch_vccnz .LBB0_874
; %bb.875:                              ;   in Loop: Header=BB0_1 Depth=1
	s_add_co_i32 s8, s2, 0x1b5
	s_mov_b32 s9, s3
	s_wait_alu 0xfffe
	v_dual_mov_b32 v1, s8 :: v_dual_mov_b32 v2, s9
	global_store_b64 v0, v[1:2], s[6:7] scope:SCOPE_SYS
.LBB0_876:                              ;   Parent Loop BB0_1 Depth=1
                                        ; =>  This Inner Loop Header: Depth=2
	global_load_b64 v[1:2], v0, s[4:5] scope:SCOPE_SYS
	s_wait_loadcnt 0x0
	v_cmp_ne_u64_e32 vcc_lo, s[8:9], v[1:2]
	s_cbranch_vccnz .LBB0_876
; %bb.877:                              ;   in Loop: Header=BB0_1 Depth=1
	s_add_co_i32 s8, s2, 0x1b6
	s_mov_b32 s9, s3
	s_wait_alu 0xfffe
	v_dual_mov_b32 v1, s8 :: v_dual_mov_b32 v2, s9
	global_store_b64 v0, v[1:2], s[6:7] scope:SCOPE_SYS
.LBB0_878:                              ;   Parent Loop BB0_1 Depth=1
                                        ; =>  This Inner Loop Header: Depth=2
	global_load_b64 v[1:2], v0, s[4:5] scope:SCOPE_SYS
	s_wait_loadcnt 0x0
	v_cmp_ne_u64_e32 vcc_lo, s[8:9], v[1:2]
	s_cbranch_vccnz .LBB0_878
; %bb.879:                              ;   in Loop: Header=BB0_1 Depth=1
	s_add_co_i32 s8, s2, 0x1b7
	s_mov_b32 s9, s3
	s_wait_alu 0xfffe
	v_dual_mov_b32 v1, s8 :: v_dual_mov_b32 v2, s9
	global_store_b64 v0, v[1:2], s[6:7] scope:SCOPE_SYS
.LBB0_880:                              ;   Parent Loop BB0_1 Depth=1
                                        ; =>  This Inner Loop Header: Depth=2
	global_load_b64 v[1:2], v0, s[4:5] scope:SCOPE_SYS
	s_wait_loadcnt 0x0
	v_cmp_ne_u64_e32 vcc_lo, s[8:9], v[1:2]
	s_cbranch_vccnz .LBB0_880
; %bb.881:                              ;   in Loop: Header=BB0_1 Depth=1
	s_add_co_i32 s8, s2, 0x1b8
	s_mov_b32 s9, s3
	s_wait_alu 0xfffe
	v_dual_mov_b32 v1, s8 :: v_dual_mov_b32 v2, s9
	global_store_b64 v0, v[1:2], s[6:7] scope:SCOPE_SYS
.LBB0_882:                              ;   Parent Loop BB0_1 Depth=1
                                        ; =>  This Inner Loop Header: Depth=2
	global_load_b64 v[1:2], v0, s[4:5] scope:SCOPE_SYS
	s_wait_loadcnt 0x0
	v_cmp_ne_u64_e32 vcc_lo, s[8:9], v[1:2]
	s_cbranch_vccnz .LBB0_882
; %bb.883:                              ;   in Loop: Header=BB0_1 Depth=1
	s_add_co_i32 s8, s2, 0x1b9
	s_mov_b32 s9, s3
	s_wait_alu 0xfffe
	v_dual_mov_b32 v1, s8 :: v_dual_mov_b32 v2, s9
	global_store_b64 v0, v[1:2], s[6:7] scope:SCOPE_SYS
.LBB0_884:                              ;   Parent Loop BB0_1 Depth=1
                                        ; =>  This Inner Loop Header: Depth=2
	global_load_b64 v[1:2], v0, s[4:5] scope:SCOPE_SYS
	s_wait_loadcnt 0x0
	v_cmp_ne_u64_e32 vcc_lo, s[8:9], v[1:2]
	s_cbranch_vccnz .LBB0_884
; %bb.885:                              ;   in Loop: Header=BB0_1 Depth=1
	s_add_co_i32 s8, s2, 0x1ba
	s_mov_b32 s9, s3
	s_wait_alu 0xfffe
	v_dual_mov_b32 v1, s8 :: v_dual_mov_b32 v2, s9
	global_store_b64 v0, v[1:2], s[6:7] scope:SCOPE_SYS
.LBB0_886:                              ;   Parent Loop BB0_1 Depth=1
                                        ; =>  This Inner Loop Header: Depth=2
	global_load_b64 v[1:2], v0, s[4:5] scope:SCOPE_SYS
	s_wait_loadcnt 0x0
	v_cmp_ne_u64_e32 vcc_lo, s[8:9], v[1:2]
	s_cbranch_vccnz .LBB0_886
; %bb.887:                              ;   in Loop: Header=BB0_1 Depth=1
	s_add_co_i32 s8, s2, 0x1bb
	s_mov_b32 s9, s3
	s_wait_alu 0xfffe
	v_dual_mov_b32 v1, s8 :: v_dual_mov_b32 v2, s9
	global_store_b64 v0, v[1:2], s[6:7] scope:SCOPE_SYS
.LBB0_888:                              ;   Parent Loop BB0_1 Depth=1
                                        ; =>  This Inner Loop Header: Depth=2
	global_load_b64 v[1:2], v0, s[4:5] scope:SCOPE_SYS
	s_wait_loadcnt 0x0
	v_cmp_ne_u64_e32 vcc_lo, s[8:9], v[1:2]
	s_cbranch_vccnz .LBB0_888
; %bb.889:                              ;   in Loop: Header=BB0_1 Depth=1
	s_add_co_i32 s8, s2, 0x1bc
	s_mov_b32 s9, s3
	s_wait_alu 0xfffe
	v_dual_mov_b32 v1, s8 :: v_dual_mov_b32 v2, s9
	global_store_b64 v0, v[1:2], s[6:7] scope:SCOPE_SYS
.LBB0_890:                              ;   Parent Loop BB0_1 Depth=1
                                        ; =>  This Inner Loop Header: Depth=2
	global_load_b64 v[1:2], v0, s[4:5] scope:SCOPE_SYS
	s_wait_loadcnt 0x0
	v_cmp_ne_u64_e32 vcc_lo, s[8:9], v[1:2]
	s_cbranch_vccnz .LBB0_890
; %bb.891:                              ;   in Loop: Header=BB0_1 Depth=1
	s_add_co_i32 s8, s2, 0x1bd
	s_mov_b32 s9, s3
	s_wait_alu 0xfffe
	v_dual_mov_b32 v1, s8 :: v_dual_mov_b32 v2, s9
	global_store_b64 v0, v[1:2], s[6:7] scope:SCOPE_SYS
.LBB0_892:                              ;   Parent Loop BB0_1 Depth=1
                                        ; =>  This Inner Loop Header: Depth=2
	global_load_b64 v[1:2], v0, s[4:5] scope:SCOPE_SYS
	s_wait_loadcnt 0x0
	v_cmp_ne_u64_e32 vcc_lo, s[8:9], v[1:2]
	s_cbranch_vccnz .LBB0_892
; %bb.893:                              ;   in Loop: Header=BB0_1 Depth=1
	s_add_co_i32 s8, s2, 0x1be
	s_mov_b32 s9, s3
	s_wait_alu 0xfffe
	v_dual_mov_b32 v1, s8 :: v_dual_mov_b32 v2, s9
	global_store_b64 v0, v[1:2], s[6:7] scope:SCOPE_SYS
.LBB0_894:                              ;   Parent Loop BB0_1 Depth=1
                                        ; =>  This Inner Loop Header: Depth=2
	global_load_b64 v[1:2], v0, s[4:5] scope:SCOPE_SYS
	s_wait_loadcnt 0x0
	v_cmp_ne_u64_e32 vcc_lo, s[8:9], v[1:2]
	s_cbranch_vccnz .LBB0_894
; %bb.895:                              ;   in Loop: Header=BB0_1 Depth=1
	s_add_co_i32 s8, s2, 0x1bf
	s_mov_b32 s9, s3
	s_wait_alu 0xfffe
	v_dual_mov_b32 v1, s8 :: v_dual_mov_b32 v2, s9
	global_store_b64 v0, v[1:2], s[6:7] scope:SCOPE_SYS
.LBB0_896:                              ;   Parent Loop BB0_1 Depth=1
                                        ; =>  This Inner Loop Header: Depth=2
	global_load_b64 v[1:2], v0, s[4:5] scope:SCOPE_SYS
	s_wait_loadcnt 0x0
	v_cmp_ne_u64_e32 vcc_lo, s[8:9], v[1:2]
	s_cbranch_vccnz .LBB0_896
; %bb.897:                              ;   in Loop: Header=BB0_1 Depth=1
	s_add_co_i32 s8, s2, 0x1c0
	s_mov_b32 s9, s3
	s_wait_alu 0xfffe
	v_dual_mov_b32 v1, s8 :: v_dual_mov_b32 v2, s9
	global_store_b64 v0, v[1:2], s[6:7] scope:SCOPE_SYS
.LBB0_898:                              ;   Parent Loop BB0_1 Depth=1
                                        ; =>  This Inner Loop Header: Depth=2
	global_load_b64 v[1:2], v0, s[4:5] scope:SCOPE_SYS
	s_wait_loadcnt 0x0
	v_cmp_ne_u64_e32 vcc_lo, s[8:9], v[1:2]
	s_cbranch_vccnz .LBB0_898
; %bb.899:                              ;   in Loop: Header=BB0_1 Depth=1
	s_add_co_i32 s8, s2, 0x1c1
	s_mov_b32 s9, s3
	s_wait_alu 0xfffe
	v_dual_mov_b32 v1, s8 :: v_dual_mov_b32 v2, s9
	global_store_b64 v0, v[1:2], s[6:7] scope:SCOPE_SYS
.LBB0_900:                              ;   Parent Loop BB0_1 Depth=1
                                        ; =>  This Inner Loop Header: Depth=2
	global_load_b64 v[1:2], v0, s[4:5] scope:SCOPE_SYS
	s_wait_loadcnt 0x0
	v_cmp_ne_u64_e32 vcc_lo, s[8:9], v[1:2]
	s_cbranch_vccnz .LBB0_900
; %bb.901:                              ;   in Loop: Header=BB0_1 Depth=1
	s_add_co_i32 s8, s2, 0x1c2
	s_mov_b32 s9, s3
	s_wait_alu 0xfffe
	v_dual_mov_b32 v1, s8 :: v_dual_mov_b32 v2, s9
	global_store_b64 v0, v[1:2], s[6:7] scope:SCOPE_SYS
.LBB0_902:                              ;   Parent Loop BB0_1 Depth=1
                                        ; =>  This Inner Loop Header: Depth=2
	global_load_b64 v[1:2], v0, s[4:5] scope:SCOPE_SYS
	s_wait_loadcnt 0x0
	v_cmp_ne_u64_e32 vcc_lo, s[8:9], v[1:2]
	s_cbranch_vccnz .LBB0_902
; %bb.903:                              ;   in Loop: Header=BB0_1 Depth=1
	s_add_co_i32 s8, s2, 0x1c3
	s_mov_b32 s9, s3
	s_wait_alu 0xfffe
	v_dual_mov_b32 v1, s8 :: v_dual_mov_b32 v2, s9
	global_store_b64 v0, v[1:2], s[6:7] scope:SCOPE_SYS
.LBB0_904:                              ;   Parent Loop BB0_1 Depth=1
                                        ; =>  This Inner Loop Header: Depth=2
	global_load_b64 v[1:2], v0, s[4:5] scope:SCOPE_SYS
	s_wait_loadcnt 0x0
	v_cmp_ne_u64_e32 vcc_lo, s[8:9], v[1:2]
	s_cbranch_vccnz .LBB0_904
; %bb.905:                              ;   in Loop: Header=BB0_1 Depth=1
	s_add_co_i32 s8, s2, 0x1c4
	s_mov_b32 s9, s3
	s_wait_alu 0xfffe
	v_dual_mov_b32 v1, s8 :: v_dual_mov_b32 v2, s9
	global_store_b64 v0, v[1:2], s[6:7] scope:SCOPE_SYS
.LBB0_906:                              ;   Parent Loop BB0_1 Depth=1
                                        ; =>  This Inner Loop Header: Depth=2
	global_load_b64 v[1:2], v0, s[4:5] scope:SCOPE_SYS
	s_wait_loadcnt 0x0
	v_cmp_ne_u64_e32 vcc_lo, s[8:9], v[1:2]
	s_cbranch_vccnz .LBB0_906
; %bb.907:                              ;   in Loop: Header=BB0_1 Depth=1
	s_add_co_i32 s8, s2, 0x1c5
	s_mov_b32 s9, s3
	s_wait_alu 0xfffe
	v_dual_mov_b32 v1, s8 :: v_dual_mov_b32 v2, s9
	global_store_b64 v0, v[1:2], s[6:7] scope:SCOPE_SYS
.LBB0_908:                              ;   Parent Loop BB0_1 Depth=1
                                        ; =>  This Inner Loop Header: Depth=2
	global_load_b64 v[1:2], v0, s[4:5] scope:SCOPE_SYS
	s_wait_loadcnt 0x0
	v_cmp_ne_u64_e32 vcc_lo, s[8:9], v[1:2]
	s_cbranch_vccnz .LBB0_908
; %bb.909:                              ;   in Loop: Header=BB0_1 Depth=1
	s_add_co_i32 s8, s2, 0x1c6
	s_mov_b32 s9, s3
	s_wait_alu 0xfffe
	v_dual_mov_b32 v1, s8 :: v_dual_mov_b32 v2, s9
	global_store_b64 v0, v[1:2], s[6:7] scope:SCOPE_SYS
.LBB0_910:                              ;   Parent Loop BB0_1 Depth=1
                                        ; =>  This Inner Loop Header: Depth=2
	global_load_b64 v[1:2], v0, s[4:5] scope:SCOPE_SYS
	s_wait_loadcnt 0x0
	v_cmp_ne_u64_e32 vcc_lo, s[8:9], v[1:2]
	s_cbranch_vccnz .LBB0_910
; %bb.911:                              ;   in Loop: Header=BB0_1 Depth=1
	s_add_co_i32 s8, s2, 0x1c7
	s_mov_b32 s9, s3
	s_wait_alu 0xfffe
	v_dual_mov_b32 v1, s8 :: v_dual_mov_b32 v2, s9
	global_store_b64 v0, v[1:2], s[6:7] scope:SCOPE_SYS
.LBB0_912:                              ;   Parent Loop BB0_1 Depth=1
                                        ; =>  This Inner Loop Header: Depth=2
	global_load_b64 v[1:2], v0, s[4:5] scope:SCOPE_SYS
	s_wait_loadcnt 0x0
	v_cmp_ne_u64_e32 vcc_lo, s[8:9], v[1:2]
	s_cbranch_vccnz .LBB0_912
; %bb.913:                              ;   in Loop: Header=BB0_1 Depth=1
	s_add_co_i32 s8, s2, 0x1c8
	s_mov_b32 s9, s3
	s_wait_alu 0xfffe
	v_dual_mov_b32 v1, s8 :: v_dual_mov_b32 v2, s9
	global_store_b64 v0, v[1:2], s[6:7] scope:SCOPE_SYS
.LBB0_914:                              ;   Parent Loop BB0_1 Depth=1
                                        ; =>  This Inner Loop Header: Depth=2
	global_load_b64 v[1:2], v0, s[4:5] scope:SCOPE_SYS
	s_wait_loadcnt 0x0
	v_cmp_ne_u64_e32 vcc_lo, s[8:9], v[1:2]
	s_cbranch_vccnz .LBB0_914
; %bb.915:                              ;   in Loop: Header=BB0_1 Depth=1
	s_add_co_i32 s8, s2, 0x1c9
	s_mov_b32 s9, s3
	s_wait_alu 0xfffe
	v_dual_mov_b32 v1, s8 :: v_dual_mov_b32 v2, s9
	global_store_b64 v0, v[1:2], s[6:7] scope:SCOPE_SYS
.LBB0_916:                              ;   Parent Loop BB0_1 Depth=1
                                        ; =>  This Inner Loop Header: Depth=2
	global_load_b64 v[1:2], v0, s[4:5] scope:SCOPE_SYS
	s_wait_loadcnt 0x0
	v_cmp_ne_u64_e32 vcc_lo, s[8:9], v[1:2]
	s_cbranch_vccnz .LBB0_916
; %bb.917:                              ;   in Loop: Header=BB0_1 Depth=1
	s_add_co_i32 s8, s2, 0x1ca
	s_mov_b32 s9, s3
	s_wait_alu 0xfffe
	v_dual_mov_b32 v1, s8 :: v_dual_mov_b32 v2, s9
	global_store_b64 v0, v[1:2], s[6:7] scope:SCOPE_SYS
.LBB0_918:                              ;   Parent Loop BB0_1 Depth=1
                                        ; =>  This Inner Loop Header: Depth=2
	global_load_b64 v[1:2], v0, s[4:5] scope:SCOPE_SYS
	s_wait_loadcnt 0x0
	v_cmp_ne_u64_e32 vcc_lo, s[8:9], v[1:2]
	s_cbranch_vccnz .LBB0_918
; %bb.919:                              ;   in Loop: Header=BB0_1 Depth=1
	s_add_co_i32 s8, s2, 0x1cb
	s_mov_b32 s9, s3
	s_wait_alu 0xfffe
	v_dual_mov_b32 v1, s8 :: v_dual_mov_b32 v2, s9
	global_store_b64 v0, v[1:2], s[6:7] scope:SCOPE_SYS
.LBB0_920:                              ;   Parent Loop BB0_1 Depth=1
                                        ; =>  This Inner Loop Header: Depth=2
	global_load_b64 v[1:2], v0, s[4:5] scope:SCOPE_SYS
	s_wait_loadcnt 0x0
	v_cmp_ne_u64_e32 vcc_lo, s[8:9], v[1:2]
	s_cbranch_vccnz .LBB0_920
; %bb.921:                              ;   in Loop: Header=BB0_1 Depth=1
	s_add_co_i32 s8, s2, 0x1cc
	s_mov_b32 s9, s3
	s_wait_alu 0xfffe
	v_dual_mov_b32 v1, s8 :: v_dual_mov_b32 v2, s9
	global_store_b64 v0, v[1:2], s[6:7] scope:SCOPE_SYS
.LBB0_922:                              ;   Parent Loop BB0_1 Depth=1
                                        ; =>  This Inner Loop Header: Depth=2
	global_load_b64 v[1:2], v0, s[4:5] scope:SCOPE_SYS
	s_wait_loadcnt 0x0
	v_cmp_ne_u64_e32 vcc_lo, s[8:9], v[1:2]
	s_cbranch_vccnz .LBB0_922
; %bb.923:                              ;   in Loop: Header=BB0_1 Depth=1
	s_add_co_i32 s8, s2, 0x1cd
	s_mov_b32 s9, s3
	s_wait_alu 0xfffe
	v_dual_mov_b32 v1, s8 :: v_dual_mov_b32 v2, s9
	global_store_b64 v0, v[1:2], s[6:7] scope:SCOPE_SYS
.LBB0_924:                              ;   Parent Loop BB0_1 Depth=1
                                        ; =>  This Inner Loop Header: Depth=2
	global_load_b64 v[1:2], v0, s[4:5] scope:SCOPE_SYS
	s_wait_loadcnt 0x0
	v_cmp_ne_u64_e32 vcc_lo, s[8:9], v[1:2]
	s_cbranch_vccnz .LBB0_924
; %bb.925:                              ;   in Loop: Header=BB0_1 Depth=1
	s_add_co_i32 s8, s2, 0x1ce
	s_mov_b32 s9, s3
	s_wait_alu 0xfffe
	v_dual_mov_b32 v1, s8 :: v_dual_mov_b32 v2, s9
	global_store_b64 v0, v[1:2], s[6:7] scope:SCOPE_SYS
.LBB0_926:                              ;   Parent Loop BB0_1 Depth=1
                                        ; =>  This Inner Loop Header: Depth=2
	global_load_b64 v[1:2], v0, s[4:5] scope:SCOPE_SYS
	s_wait_loadcnt 0x0
	v_cmp_ne_u64_e32 vcc_lo, s[8:9], v[1:2]
	s_cbranch_vccnz .LBB0_926
; %bb.927:                              ;   in Loop: Header=BB0_1 Depth=1
	s_add_co_i32 s8, s2, 0x1cf
	s_mov_b32 s9, s3
	s_wait_alu 0xfffe
	v_dual_mov_b32 v1, s8 :: v_dual_mov_b32 v2, s9
	global_store_b64 v0, v[1:2], s[6:7] scope:SCOPE_SYS
.LBB0_928:                              ;   Parent Loop BB0_1 Depth=1
                                        ; =>  This Inner Loop Header: Depth=2
	global_load_b64 v[1:2], v0, s[4:5] scope:SCOPE_SYS
	s_wait_loadcnt 0x0
	v_cmp_ne_u64_e32 vcc_lo, s[8:9], v[1:2]
	s_cbranch_vccnz .LBB0_928
; %bb.929:                              ;   in Loop: Header=BB0_1 Depth=1
	s_add_co_i32 s8, s2, 0x1d0
	s_mov_b32 s9, s3
	s_wait_alu 0xfffe
	v_dual_mov_b32 v1, s8 :: v_dual_mov_b32 v2, s9
	global_store_b64 v0, v[1:2], s[6:7] scope:SCOPE_SYS
.LBB0_930:                              ;   Parent Loop BB0_1 Depth=1
                                        ; =>  This Inner Loop Header: Depth=2
	global_load_b64 v[1:2], v0, s[4:5] scope:SCOPE_SYS
	s_wait_loadcnt 0x0
	v_cmp_ne_u64_e32 vcc_lo, s[8:9], v[1:2]
	s_cbranch_vccnz .LBB0_930
; %bb.931:                              ;   in Loop: Header=BB0_1 Depth=1
	s_add_co_i32 s8, s2, 0x1d1
	s_mov_b32 s9, s3
	s_wait_alu 0xfffe
	v_dual_mov_b32 v1, s8 :: v_dual_mov_b32 v2, s9
	global_store_b64 v0, v[1:2], s[6:7] scope:SCOPE_SYS
.LBB0_932:                              ;   Parent Loop BB0_1 Depth=1
                                        ; =>  This Inner Loop Header: Depth=2
	global_load_b64 v[1:2], v0, s[4:5] scope:SCOPE_SYS
	s_wait_loadcnt 0x0
	v_cmp_ne_u64_e32 vcc_lo, s[8:9], v[1:2]
	s_cbranch_vccnz .LBB0_932
; %bb.933:                              ;   in Loop: Header=BB0_1 Depth=1
	s_add_co_i32 s8, s2, 0x1d2
	s_mov_b32 s9, s3
	s_wait_alu 0xfffe
	v_dual_mov_b32 v1, s8 :: v_dual_mov_b32 v2, s9
	global_store_b64 v0, v[1:2], s[6:7] scope:SCOPE_SYS
.LBB0_934:                              ;   Parent Loop BB0_1 Depth=1
                                        ; =>  This Inner Loop Header: Depth=2
	global_load_b64 v[1:2], v0, s[4:5] scope:SCOPE_SYS
	s_wait_loadcnt 0x0
	v_cmp_ne_u64_e32 vcc_lo, s[8:9], v[1:2]
	s_cbranch_vccnz .LBB0_934
; %bb.935:                              ;   in Loop: Header=BB0_1 Depth=1
	s_add_co_i32 s8, s2, 0x1d3
	s_mov_b32 s9, s3
	s_wait_alu 0xfffe
	v_dual_mov_b32 v1, s8 :: v_dual_mov_b32 v2, s9
	global_store_b64 v0, v[1:2], s[6:7] scope:SCOPE_SYS
.LBB0_936:                              ;   Parent Loop BB0_1 Depth=1
                                        ; =>  This Inner Loop Header: Depth=2
	global_load_b64 v[1:2], v0, s[4:5] scope:SCOPE_SYS
	s_wait_loadcnt 0x0
	v_cmp_ne_u64_e32 vcc_lo, s[8:9], v[1:2]
	s_cbranch_vccnz .LBB0_936
; %bb.937:                              ;   in Loop: Header=BB0_1 Depth=1
	s_add_co_i32 s8, s2, 0x1d4
	s_mov_b32 s9, s3
	s_wait_alu 0xfffe
	v_dual_mov_b32 v1, s8 :: v_dual_mov_b32 v2, s9
	global_store_b64 v0, v[1:2], s[6:7] scope:SCOPE_SYS
.LBB0_938:                              ;   Parent Loop BB0_1 Depth=1
                                        ; =>  This Inner Loop Header: Depth=2
	global_load_b64 v[1:2], v0, s[4:5] scope:SCOPE_SYS
	s_wait_loadcnt 0x0
	v_cmp_ne_u64_e32 vcc_lo, s[8:9], v[1:2]
	s_cbranch_vccnz .LBB0_938
; %bb.939:                              ;   in Loop: Header=BB0_1 Depth=1
	s_add_co_i32 s8, s2, 0x1d5
	s_mov_b32 s9, s3
	s_wait_alu 0xfffe
	v_dual_mov_b32 v1, s8 :: v_dual_mov_b32 v2, s9
	global_store_b64 v0, v[1:2], s[6:7] scope:SCOPE_SYS
.LBB0_940:                              ;   Parent Loop BB0_1 Depth=1
                                        ; =>  This Inner Loop Header: Depth=2
	global_load_b64 v[1:2], v0, s[4:5] scope:SCOPE_SYS
	s_wait_loadcnt 0x0
	v_cmp_ne_u64_e32 vcc_lo, s[8:9], v[1:2]
	s_cbranch_vccnz .LBB0_940
; %bb.941:                              ;   in Loop: Header=BB0_1 Depth=1
	s_add_co_i32 s8, s2, 0x1d6
	s_mov_b32 s9, s3
	s_wait_alu 0xfffe
	v_dual_mov_b32 v1, s8 :: v_dual_mov_b32 v2, s9
	global_store_b64 v0, v[1:2], s[6:7] scope:SCOPE_SYS
.LBB0_942:                              ;   Parent Loop BB0_1 Depth=1
                                        ; =>  This Inner Loop Header: Depth=2
	global_load_b64 v[1:2], v0, s[4:5] scope:SCOPE_SYS
	s_wait_loadcnt 0x0
	v_cmp_ne_u64_e32 vcc_lo, s[8:9], v[1:2]
	s_cbranch_vccnz .LBB0_942
; %bb.943:                              ;   in Loop: Header=BB0_1 Depth=1
	s_add_co_i32 s8, s2, 0x1d7
	s_mov_b32 s9, s3
	s_wait_alu 0xfffe
	v_dual_mov_b32 v1, s8 :: v_dual_mov_b32 v2, s9
	global_store_b64 v0, v[1:2], s[6:7] scope:SCOPE_SYS
.LBB0_944:                              ;   Parent Loop BB0_1 Depth=1
                                        ; =>  This Inner Loop Header: Depth=2
	global_load_b64 v[1:2], v0, s[4:5] scope:SCOPE_SYS
	s_wait_loadcnt 0x0
	v_cmp_ne_u64_e32 vcc_lo, s[8:9], v[1:2]
	s_cbranch_vccnz .LBB0_944
; %bb.945:                              ;   in Loop: Header=BB0_1 Depth=1
	s_add_co_i32 s8, s2, 0x1d8
	s_mov_b32 s9, s3
	s_wait_alu 0xfffe
	v_dual_mov_b32 v1, s8 :: v_dual_mov_b32 v2, s9
	global_store_b64 v0, v[1:2], s[6:7] scope:SCOPE_SYS
.LBB0_946:                              ;   Parent Loop BB0_1 Depth=1
                                        ; =>  This Inner Loop Header: Depth=2
	global_load_b64 v[1:2], v0, s[4:5] scope:SCOPE_SYS
	s_wait_loadcnt 0x0
	v_cmp_ne_u64_e32 vcc_lo, s[8:9], v[1:2]
	s_cbranch_vccnz .LBB0_946
; %bb.947:                              ;   in Loop: Header=BB0_1 Depth=1
	s_add_co_i32 s8, s2, 0x1d9
	s_mov_b32 s9, s3
	s_wait_alu 0xfffe
	v_dual_mov_b32 v1, s8 :: v_dual_mov_b32 v2, s9
	global_store_b64 v0, v[1:2], s[6:7] scope:SCOPE_SYS
.LBB0_948:                              ;   Parent Loop BB0_1 Depth=1
                                        ; =>  This Inner Loop Header: Depth=2
	global_load_b64 v[1:2], v0, s[4:5] scope:SCOPE_SYS
	s_wait_loadcnt 0x0
	v_cmp_ne_u64_e32 vcc_lo, s[8:9], v[1:2]
	s_cbranch_vccnz .LBB0_948
; %bb.949:                              ;   in Loop: Header=BB0_1 Depth=1
	s_add_co_i32 s8, s2, 0x1da
	s_mov_b32 s9, s3
	s_wait_alu 0xfffe
	v_dual_mov_b32 v1, s8 :: v_dual_mov_b32 v2, s9
	global_store_b64 v0, v[1:2], s[6:7] scope:SCOPE_SYS
.LBB0_950:                              ;   Parent Loop BB0_1 Depth=1
                                        ; =>  This Inner Loop Header: Depth=2
	global_load_b64 v[1:2], v0, s[4:5] scope:SCOPE_SYS
	s_wait_loadcnt 0x0
	v_cmp_ne_u64_e32 vcc_lo, s[8:9], v[1:2]
	s_cbranch_vccnz .LBB0_950
; %bb.951:                              ;   in Loop: Header=BB0_1 Depth=1
	s_add_co_i32 s8, s2, 0x1db
	s_mov_b32 s9, s3
	s_wait_alu 0xfffe
	v_dual_mov_b32 v1, s8 :: v_dual_mov_b32 v2, s9
	global_store_b64 v0, v[1:2], s[6:7] scope:SCOPE_SYS
.LBB0_952:                              ;   Parent Loop BB0_1 Depth=1
                                        ; =>  This Inner Loop Header: Depth=2
	global_load_b64 v[1:2], v0, s[4:5] scope:SCOPE_SYS
	s_wait_loadcnt 0x0
	v_cmp_ne_u64_e32 vcc_lo, s[8:9], v[1:2]
	s_cbranch_vccnz .LBB0_952
; %bb.953:                              ;   in Loop: Header=BB0_1 Depth=1
	s_add_co_i32 s8, s2, 0x1dc
	s_mov_b32 s9, s3
	s_wait_alu 0xfffe
	v_dual_mov_b32 v1, s8 :: v_dual_mov_b32 v2, s9
	global_store_b64 v0, v[1:2], s[6:7] scope:SCOPE_SYS
.LBB0_954:                              ;   Parent Loop BB0_1 Depth=1
                                        ; =>  This Inner Loop Header: Depth=2
	global_load_b64 v[1:2], v0, s[4:5] scope:SCOPE_SYS
	s_wait_loadcnt 0x0
	v_cmp_ne_u64_e32 vcc_lo, s[8:9], v[1:2]
	s_cbranch_vccnz .LBB0_954
; %bb.955:                              ;   in Loop: Header=BB0_1 Depth=1
	s_add_co_i32 s8, s2, 0x1dd
	s_mov_b32 s9, s3
	s_wait_alu 0xfffe
	v_dual_mov_b32 v1, s8 :: v_dual_mov_b32 v2, s9
	global_store_b64 v0, v[1:2], s[6:7] scope:SCOPE_SYS
.LBB0_956:                              ;   Parent Loop BB0_1 Depth=1
                                        ; =>  This Inner Loop Header: Depth=2
	global_load_b64 v[1:2], v0, s[4:5] scope:SCOPE_SYS
	s_wait_loadcnt 0x0
	v_cmp_ne_u64_e32 vcc_lo, s[8:9], v[1:2]
	s_cbranch_vccnz .LBB0_956
; %bb.957:                              ;   in Loop: Header=BB0_1 Depth=1
	s_add_co_i32 s8, s2, 0x1de
	s_mov_b32 s9, s3
	s_wait_alu 0xfffe
	v_dual_mov_b32 v1, s8 :: v_dual_mov_b32 v2, s9
	global_store_b64 v0, v[1:2], s[6:7] scope:SCOPE_SYS
.LBB0_958:                              ;   Parent Loop BB0_1 Depth=1
                                        ; =>  This Inner Loop Header: Depth=2
	global_load_b64 v[1:2], v0, s[4:5] scope:SCOPE_SYS
	s_wait_loadcnt 0x0
	v_cmp_ne_u64_e32 vcc_lo, s[8:9], v[1:2]
	s_cbranch_vccnz .LBB0_958
; %bb.959:                              ;   in Loop: Header=BB0_1 Depth=1
	s_add_co_i32 s8, s2, 0x1df
	s_mov_b32 s9, s3
	s_wait_alu 0xfffe
	v_dual_mov_b32 v1, s8 :: v_dual_mov_b32 v2, s9
	global_store_b64 v0, v[1:2], s[6:7] scope:SCOPE_SYS
.LBB0_960:                              ;   Parent Loop BB0_1 Depth=1
                                        ; =>  This Inner Loop Header: Depth=2
	global_load_b64 v[1:2], v0, s[4:5] scope:SCOPE_SYS
	s_wait_loadcnt 0x0
	v_cmp_ne_u64_e32 vcc_lo, s[8:9], v[1:2]
	s_cbranch_vccnz .LBB0_960
; %bb.961:                              ;   in Loop: Header=BB0_1 Depth=1
	s_add_co_i32 s8, s2, 0x1e0
	s_mov_b32 s9, s3
	s_wait_alu 0xfffe
	v_dual_mov_b32 v1, s8 :: v_dual_mov_b32 v2, s9
	global_store_b64 v0, v[1:2], s[6:7] scope:SCOPE_SYS
.LBB0_962:                              ;   Parent Loop BB0_1 Depth=1
                                        ; =>  This Inner Loop Header: Depth=2
	global_load_b64 v[1:2], v0, s[4:5] scope:SCOPE_SYS
	s_wait_loadcnt 0x0
	v_cmp_ne_u64_e32 vcc_lo, s[8:9], v[1:2]
	s_cbranch_vccnz .LBB0_962
; %bb.963:                              ;   in Loop: Header=BB0_1 Depth=1
	s_add_co_i32 s8, s2, 0x1e1
	s_mov_b32 s9, s3
	s_wait_alu 0xfffe
	v_dual_mov_b32 v1, s8 :: v_dual_mov_b32 v2, s9
	global_store_b64 v0, v[1:2], s[6:7] scope:SCOPE_SYS
.LBB0_964:                              ;   Parent Loop BB0_1 Depth=1
                                        ; =>  This Inner Loop Header: Depth=2
	global_load_b64 v[1:2], v0, s[4:5] scope:SCOPE_SYS
	s_wait_loadcnt 0x0
	v_cmp_ne_u64_e32 vcc_lo, s[8:9], v[1:2]
	s_cbranch_vccnz .LBB0_964
; %bb.965:                              ;   in Loop: Header=BB0_1 Depth=1
	s_add_co_i32 s8, s2, 0x1e2
	s_mov_b32 s9, s3
	s_wait_alu 0xfffe
	v_dual_mov_b32 v1, s8 :: v_dual_mov_b32 v2, s9
	global_store_b64 v0, v[1:2], s[6:7] scope:SCOPE_SYS
.LBB0_966:                              ;   Parent Loop BB0_1 Depth=1
                                        ; =>  This Inner Loop Header: Depth=2
	global_load_b64 v[1:2], v0, s[4:5] scope:SCOPE_SYS
	s_wait_loadcnt 0x0
	v_cmp_ne_u64_e32 vcc_lo, s[8:9], v[1:2]
	s_cbranch_vccnz .LBB0_966
; %bb.967:                              ;   in Loop: Header=BB0_1 Depth=1
	s_add_co_i32 s8, s2, 0x1e3
	s_mov_b32 s9, s3
	s_wait_alu 0xfffe
	v_dual_mov_b32 v1, s8 :: v_dual_mov_b32 v2, s9
	global_store_b64 v0, v[1:2], s[6:7] scope:SCOPE_SYS
.LBB0_968:                              ;   Parent Loop BB0_1 Depth=1
                                        ; =>  This Inner Loop Header: Depth=2
	global_load_b64 v[1:2], v0, s[4:5] scope:SCOPE_SYS
	s_wait_loadcnt 0x0
	v_cmp_ne_u64_e32 vcc_lo, s[8:9], v[1:2]
	s_cbranch_vccnz .LBB0_968
; %bb.969:                              ;   in Loop: Header=BB0_1 Depth=1
	s_add_co_i32 s8, s2, 0x1e4
	s_mov_b32 s9, s3
	s_wait_alu 0xfffe
	v_dual_mov_b32 v1, s8 :: v_dual_mov_b32 v2, s9
	global_store_b64 v0, v[1:2], s[6:7] scope:SCOPE_SYS
.LBB0_970:                              ;   Parent Loop BB0_1 Depth=1
                                        ; =>  This Inner Loop Header: Depth=2
	global_load_b64 v[1:2], v0, s[4:5] scope:SCOPE_SYS
	s_wait_loadcnt 0x0
	v_cmp_ne_u64_e32 vcc_lo, s[8:9], v[1:2]
	s_cbranch_vccnz .LBB0_970
; %bb.971:                              ;   in Loop: Header=BB0_1 Depth=1
	s_add_co_i32 s8, s2, 0x1e5
	s_mov_b32 s9, s3
	s_wait_alu 0xfffe
	v_dual_mov_b32 v1, s8 :: v_dual_mov_b32 v2, s9
	global_store_b64 v0, v[1:2], s[6:7] scope:SCOPE_SYS
.LBB0_972:                              ;   Parent Loop BB0_1 Depth=1
                                        ; =>  This Inner Loop Header: Depth=2
	global_load_b64 v[1:2], v0, s[4:5] scope:SCOPE_SYS
	s_wait_loadcnt 0x0
	v_cmp_ne_u64_e32 vcc_lo, s[8:9], v[1:2]
	s_cbranch_vccnz .LBB0_972
; %bb.973:                              ;   in Loop: Header=BB0_1 Depth=1
	s_add_co_i32 s8, s2, 0x1e6
	s_mov_b32 s9, s3
	s_wait_alu 0xfffe
	v_dual_mov_b32 v1, s8 :: v_dual_mov_b32 v2, s9
	global_store_b64 v0, v[1:2], s[6:7] scope:SCOPE_SYS
.LBB0_974:                              ;   Parent Loop BB0_1 Depth=1
                                        ; =>  This Inner Loop Header: Depth=2
	global_load_b64 v[1:2], v0, s[4:5] scope:SCOPE_SYS
	s_wait_loadcnt 0x0
	v_cmp_ne_u64_e32 vcc_lo, s[8:9], v[1:2]
	s_cbranch_vccnz .LBB0_974
; %bb.975:                              ;   in Loop: Header=BB0_1 Depth=1
	s_add_co_i32 s8, s2, 0x1e7
	s_mov_b32 s9, s3
	s_wait_alu 0xfffe
	v_dual_mov_b32 v1, s8 :: v_dual_mov_b32 v2, s9
	global_store_b64 v0, v[1:2], s[6:7] scope:SCOPE_SYS
.LBB0_976:                              ;   Parent Loop BB0_1 Depth=1
                                        ; =>  This Inner Loop Header: Depth=2
	global_load_b64 v[1:2], v0, s[4:5] scope:SCOPE_SYS
	s_wait_loadcnt 0x0
	v_cmp_ne_u64_e32 vcc_lo, s[8:9], v[1:2]
	s_cbranch_vccnz .LBB0_976
; %bb.977:                              ;   in Loop: Header=BB0_1 Depth=1
	s_add_co_i32 s8, s2, 0x1e8
	s_mov_b32 s9, s3
	s_wait_alu 0xfffe
	v_dual_mov_b32 v1, s8 :: v_dual_mov_b32 v2, s9
	global_store_b64 v0, v[1:2], s[6:7] scope:SCOPE_SYS
.LBB0_978:                              ;   Parent Loop BB0_1 Depth=1
                                        ; =>  This Inner Loop Header: Depth=2
	global_load_b64 v[1:2], v0, s[4:5] scope:SCOPE_SYS
	s_wait_loadcnt 0x0
	v_cmp_ne_u64_e32 vcc_lo, s[8:9], v[1:2]
	s_cbranch_vccnz .LBB0_978
; %bb.979:                              ;   in Loop: Header=BB0_1 Depth=1
	s_add_co_i32 s8, s2, 0x1e9
	s_mov_b32 s9, s3
	s_wait_alu 0xfffe
	v_dual_mov_b32 v1, s8 :: v_dual_mov_b32 v2, s9
	global_store_b64 v0, v[1:2], s[6:7] scope:SCOPE_SYS
.LBB0_980:                              ;   Parent Loop BB0_1 Depth=1
                                        ; =>  This Inner Loop Header: Depth=2
	global_load_b64 v[1:2], v0, s[4:5] scope:SCOPE_SYS
	s_wait_loadcnt 0x0
	v_cmp_ne_u64_e32 vcc_lo, s[8:9], v[1:2]
	s_cbranch_vccnz .LBB0_980
; %bb.981:                              ;   in Loop: Header=BB0_1 Depth=1
	s_add_co_i32 s8, s2, 0x1ea
	s_mov_b32 s9, s3
	s_wait_alu 0xfffe
	v_dual_mov_b32 v1, s8 :: v_dual_mov_b32 v2, s9
	global_store_b64 v0, v[1:2], s[6:7] scope:SCOPE_SYS
.LBB0_982:                              ;   Parent Loop BB0_1 Depth=1
                                        ; =>  This Inner Loop Header: Depth=2
	global_load_b64 v[1:2], v0, s[4:5] scope:SCOPE_SYS
	s_wait_loadcnt 0x0
	v_cmp_ne_u64_e32 vcc_lo, s[8:9], v[1:2]
	s_cbranch_vccnz .LBB0_982
; %bb.983:                              ;   in Loop: Header=BB0_1 Depth=1
	s_add_co_i32 s8, s2, 0x1eb
	s_mov_b32 s9, s3
	s_wait_alu 0xfffe
	v_dual_mov_b32 v1, s8 :: v_dual_mov_b32 v2, s9
	global_store_b64 v0, v[1:2], s[6:7] scope:SCOPE_SYS
.LBB0_984:                              ;   Parent Loop BB0_1 Depth=1
                                        ; =>  This Inner Loop Header: Depth=2
	global_load_b64 v[1:2], v0, s[4:5] scope:SCOPE_SYS
	s_wait_loadcnt 0x0
	v_cmp_ne_u64_e32 vcc_lo, s[8:9], v[1:2]
	s_cbranch_vccnz .LBB0_984
; %bb.985:                              ;   in Loop: Header=BB0_1 Depth=1
	s_add_co_i32 s8, s2, 0x1ec
	s_mov_b32 s9, s3
	s_wait_alu 0xfffe
	v_dual_mov_b32 v1, s8 :: v_dual_mov_b32 v2, s9
	global_store_b64 v0, v[1:2], s[6:7] scope:SCOPE_SYS
.LBB0_986:                              ;   Parent Loop BB0_1 Depth=1
                                        ; =>  This Inner Loop Header: Depth=2
	global_load_b64 v[1:2], v0, s[4:5] scope:SCOPE_SYS
	s_wait_loadcnt 0x0
	v_cmp_ne_u64_e32 vcc_lo, s[8:9], v[1:2]
	s_cbranch_vccnz .LBB0_986
; %bb.987:                              ;   in Loop: Header=BB0_1 Depth=1
	s_add_co_i32 s8, s2, 0x1ed
	s_mov_b32 s9, s3
	s_wait_alu 0xfffe
	v_dual_mov_b32 v1, s8 :: v_dual_mov_b32 v2, s9
	global_store_b64 v0, v[1:2], s[6:7] scope:SCOPE_SYS
.LBB0_988:                              ;   Parent Loop BB0_1 Depth=1
                                        ; =>  This Inner Loop Header: Depth=2
	global_load_b64 v[1:2], v0, s[4:5] scope:SCOPE_SYS
	s_wait_loadcnt 0x0
	v_cmp_ne_u64_e32 vcc_lo, s[8:9], v[1:2]
	s_cbranch_vccnz .LBB0_988
; %bb.989:                              ;   in Loop: Header=BB0_1 Depth=1
	s_add_co_i32 s8, s2, 0x1ee
	s_mov_b32 s9, s3
	s_wait_alu 0xfffe
	v_dual_mov_b32 v1, s8 :: v_dual_mov_b32 v2, s9
	global_store_b64 v0, v[1:2], s[6:7] scope:SCOPE_SYS
.LBB0_990:                              ;   Parent Loop BB0_1 Depth=1
                                        ; =>  This Inner Loop Header: Depth=2
	global_load_b64 v[1:2], v0, s[4:5] scope:SCOPE_SYS
	s_wait_loadcnt 0x0
	v_cmp_ne_u64_e32 vcc_lo, s[8:9], v[1:2]
	s_cbranch_vccnz .LBB0_990
; %bb.991:                              ;   in Loop: Header=BB0_1 Depth=1
	s_add_co_i32 s8, s2, 0x1ef
	s_mov_b32 s9, s3
	s_wait_alu 0xfffe
	v_dual_mov_b32 v1, s8 :: v_dual_mov_b32 v2, s9
	global_store_b64 v0, v[1:2], s[6:7] scope:SCOPE_SYS
.LBB0_992:                              ;   Parent Loop BB0_1 Depth=1
                                        ; =>  This Inner Loop Header: Depth=2
	global_load_b64 v[1:2], v0, s[4:5] scope:SCOPE_SYS
	s_wait_loadcnt 0x0
	v_cmp_ne_u64_e32 vcc_lo, s[8:9], v[1:2]
	s_cbranch_vccnz .LBB0_992
; %bb.993:                              ;   in Loop: Header=BB0_1 Depth=1
	s_add_co_i32 s8, s2, 0x1f0
	s_mov_b32 s9, s3
	s_wait_alu 0xfffe
	v_dual_mov_b32 v1, s8 :: v_dual_mov_b32 v2, s9
	global_store_b64 v0, v[1:2], s[6:7] scope:SCOPE_SYS
.LBB0_994:                              ;   Parent Loop BB0_1 Depth=1
                                        ; =>  This Inner Loop Header: Depth=2
	global_load_b64 v[1:2], v0, s[4:5] scope:SCOPE_SYS
	s_wait_loadcnt 0x0
	v_cmp_ne_u64_e32 vcc_lo, s[8:9], v[1:2]
	s_cbranch_vccnz .LBB0_994
; %bb.995:                              ;   in Loop: Header=BB0_1 Depth=1
	s_add_co_i32 s8, s2, 0x1f1
	s_mov_b32 s9, s3
	s_wait_alu 0xfffe
	v_dual_mov_b32 v1, s8 :: v_dual_mov_b32 v2, s9
	global_store_b64 v0, v[1:2], s[6:7] scope:SCOPE_SYS
.LBB0_996:                              ;   Parent Loop BB0_1 Depth=1
                                        ; =>  This Inner Loop Header: Depth=2
	global_load_b64 v[1:2], v0, s[4:5] scope:SCOPE_SYS
	s_wait_loadcnt 0x0
	v_cmp_ne_u64_e32 vcc_lo, s[8:9], v[1:2]
	s_cbranch_vccnz .LBB0_996
; %bb.997:                              ;   in Loop: Header=BB0_1 Depth=1
	s_add_co_i32 s8, s2, 0x1f2
	s_mov_b32 s9, s3
	s_wait_alu 0xfffe
	v_dual_mov_b32 v1, s8 :: v_dual_mov_b32 v2, s9
	global_store_b64 v0, v[1:2], s[6:7] scope:SCOPE_SYS
.LBB0_998:                              ;   Parent Loop BB0_1 Depth=1
                                        ; =>  This Inner Loop Header: Depth=2
	global_load_b64 v[1:2], v0, s[4:5] scope:SCOPE_SYS
	s_wait_loadcnt 0x0
	v_cmp_ne_u64_e32 vcc_lo, s[8:9], v[1:2]
	s_cbranch_vccnz .LBB0_998
; %bb.999:                              ;   in Loop: Header=BB0_1 Depth=1
	s_add_co_i32 s8, s2, 0x1f3
	s_mov_b32 s9, s3
	s_wait_alu 0xfffe
	v_dual_mov_b32 v1, s8 :: v_dual_mov_b32 v2, s9
	global_store_b64 v0, v[1:2], s[6:7] scope:SCOPE_SYS
.LBB0_1000:                             ;   Parent Loop BB0_1 Depth=1
                                        ; =>  This Inner Loop Header: Depth=2
	global_load_b64 v[1:2], v0, s[4:5] scope:SCOPE_SYS
	s_wait_loadcnt 0x0
	v_cmp_ne_u64_e32 vcc_lo, s[8:9], v[1:2]
	s_cbranch_vccnz .LBB0_1000
; %bb.1001:                             ;   in Loop: Header=BB0_1 Depth=1
	s_add_co_i32 s8, s2, 0x1f4
	s_mov_b32 s9, s3
	s_wait_alu 0xfffe
	v_dual_mov_b32 v1, s8 :: v_dual_mov_b32 v2, s9
	global_store_b64 v0, v[1:2], s[6:7] scope:SCOPE_SYS
.LBB0_1002:                             ;   Parent Loop BB0_1 Depth=1
                                        ; =>  This Inner Loop Header: Depth=2
	global_load_b64 v[1:2], v0, s[4:5] scope:SCOPE_SYS
	s_wait_loadcnt 0x0
	v_cmp_ne_u64_e32 vcc_lo, s[8:9], v[1:2]
	s_cbranch_vccnz .LBB0_1002
; %bb.1003:                             ;   in Loop: Header=BB0_1 Depth=1
	s_add_co_i32 s8, s2, 0x1f5
	s_mov_b32 s9, s3
	s_wait_alu 0xfffe
	v_dual_mov_b32 v1, s8 :: v_dual_mov_b32 v2, s9
	;; [unrolled: 12-line block ×500, first 2 shown]
	global_store_b64 v0, v[1:2], s[6:7] scope:SCOPE_SYS
.LBB0_2000:                             ;   Parent Loop BB0_1 Depth=1
                                        ; =>  This Inner Loop Header: Depth=2
	global_load_b64 v[1:2], v0, s[4:5] scope:SCOPE_SYS
	s_wait_loadcnt 0x0
	v_cmp_ne_u64_e32 vcc_lo, s[8:9], v[1:2]
	s_cbranch_vccnz .LBB0_2000
; %bb.2001:                             ;   in Loop: Header=BB0_1 Depth=1
	s_addk_co_i32 s2, 0x3e8
	s_wait_alu 0xfffe
	s_cmp_eq_u32 s2, 0x7d1
	s_cbranch_scc0 .LBB0_1
; %bb.2002:
	v_mov_b32_e32 v0, 0
	s_movk_i32 s8, 0x7d1
	s_sendmsg_rtn_b64 s[2:3], sendmsg(MSG_RTN_GET_REALTIME)
	s_mov_b32 s9, 0
.LBB0_2003:                             ; =>This Loop Header: Depth=1
                                        ;     Child Loop BB0_2004 Depth 2
                                        ;     Child Loop BB0_2006 Depth 2
	;; [unrolled: 1-line block ×1250, first 2 shown]
	s_wait_alu 0xfffe
	v_dual_mov_b32 v1, s8 :: v_dual_mov_b32 v2, s9
	global_store_b64 v0, v[1:2], s[6:7] scope:SCOPE_SYS
.LBB0_2004:                             ;   Parent Loop BB0_2003 Depth=1
                                        ; =>  This Inner Loop Header: Depth=2
	global_load_b64 v[1:2], v0, s[4:5] scope:SCOPE_SYS
	s_wait_loadcnt 0x0
	v_cmp_ne_u64_e32 vcc_lo, s[8:9], v[1:2]
	s_cbranch_vccnz .LBB0_2004
; %bb.2005:                             ;   in Loop: Header=BB0_2003 Depth=1
	s_add_co_i32 s10, s8, 1
	s_mov_b32 s11, s9
	s_wait_alu 0xfffe
	v_dual_mov_b32 v1, s10 :: v_dual_mov_b32 v2, s11
	global_store_b64 v0, v[1:2], s[6:7] scope:SCOPE_SYS
.LBB0_2006:                             ;   Parent Loop BB0_2003 Depth=1
                                        ; =>  This Inner Loop Header: Depth=2
	global_load_b64 v[1:2], v0, s[4:5] scope:SCOPE_SYS
	s_wait_loadcnt 0x0
	v_cmp_ne_u64_e32 vcc_lo, s[10:11], v[1:2]
	s_cbranch_vccnz .LBB0_2006
; %bb.2007:                             ;   in Loop: Header=BB0_2003 Depth=1
	s_add_co_i32 s10, s8, 2
	s_mov_b32 s11, s9
	;; [unrolled: 12-line block ×1249, first 2 shown]
	s_wait_alu 0xfffe
	v_dual_mov_b32 v1, s10 :: v_dual_mov_b32 v2, s11
	global_store_b64 v0, v[1:2], s[6:7] scope:SCOPE_SYS
.LBB0_4502:                             ;   Parent Loop BB0_2003 Depth=1
                                        ; =>  This Inner Loop Header: Depth=2
	global_load_b64 v[1:2], v0, s[4:5] scope:SCOPE_SYS
	s_wait_loadcnt 0x0
	v_cmp_ne_u64_e32 vcc_lo, s[10:11], v[1:2]
	s_cbranch_vccnz .LBB0_4502
; %bb.4503:                             ;   in Loop: Header=BB0_2003 Depth=1
	s_addk_co_i32 s8, 0x4e2
	s_wait_alu 0xfffe
	s_cmp_eq_u32 s8, 0x2ee1
	s_cbranch_scc0 .LBB0_2003
; %bb.4504:
	s_sendmsg_rtn_b64 s[4:5], sendmsg(MSG_RTN_GET_REALTIME)
	s_wait_kmcnt 0x0
	s_sub_nc_u64 s[2:3], s[4:5], s[2:3]
	v_mov_b32_e32 v2, 0
	s_wait_alu 0xfffe
	v_dual_mov_b32 v0, s2 :: v_dual_mov_b32 v1, s3
	global_store_b64 v2, v[0:1], s[0:1]
	s_endpgm
	.section	.rodata,"a",@progbits
	.p2align	6, 0x0
	.amdhsa_kernel _Z10PingKernelPmS_S_
		.amdhsa_group_segment_fixed_size 0
		.amdhsa_private_segment_fixed_size 0
		.amdhsa_kernarg_size 24
		.amdhsa_user_sgpr_count 2
		.amdhsa_user_sgpr_dispatch_ptr 0
		.amdhsa_user_sgpr_queue_ptr 0
		.amdhsa_user_sgpr_kernarg_segment_ptr 1
		.amdhsa_user_sgpr_dispatch_id 0
		.amdhsa_user_sgpr_private_segment_size 0
		.amdhsa_wavefront_size32 1
		.amdhsa_uses_dynamic_stack 0
		.amdhsa_enable_private_segment 0
		.amdhsa_system_sgpr_workgroup_id_x 1
		.amdhsa_system_sgpr_workgroup_id_y 0
		.amdhsa_system_sgpr_workgroup_id_z 0
		.amdhsa_system_sgpr_workgroup_info 0
		.amdhsa_system_vgpr_workitem_id 0
		.amdhsa_next_free_vgpr 3
		.amdhsa_next_free_sgpr 12
		.amdhsa_reserve_vcc 1
		.amdhsa_float_round_mode_32 0
		.amdhsa_float_round_mode_16_64 0
		.amdhsa_float_denorm_mode_32 3
		.amdhsa_float_denorm_mode_16_64 3
		.amdhsa_fp16_overflow 0
		.amdhsa_workgroup_processor_mode 1
		.amdhsa_memory_ordered 1
		.amdhsa_forward_progress 1
		.amdhsa_inst_pref_size 255
		.amdhsa_round_robin_scheduling 0
		.amdhsa_exception_fp_ieee_invalid_op 0
		.amdhsa_exception_fp_denorm_src 0
		.amdhsa_exception_fp_ieee_div_zero 0
		.amdhsa_exception_fp_ieee_overflow 0
		.amdhsa_exception_fp_ieee_underflow 0
		.amdhsa_exception_fp_ieee_inexact 0
		.amdhsa_exception_int_div_zero 0
	.end_amdhsa_kernel
	.text
.Lfunc_end0:
	.size	_Z10PingKernelPmS_S_, .Lfunc_end0-_Z10PingKernelPmS_S_
                                        ; -- End function
	.set _Z10PingKernelPmS_S_.num_vgpr, 3
	.set _Z10PingKernelPmS_S_.num_agpr, 0
	.set _Z10PingKernelPmS_S_.numbered_sgpr, 12
	.set _Z10PingKernelPmS_S_.num_named_barrier, 0
	.set _Z10PingKernelPmS_S_.private_seg_size, 0
	.set _Z10PingKernelPmS_S_.uses_vcc, 1
	.set _Z10PingKernelPmS_S_.uses_flat_scratch, 0
	.set _Z10PingKernelPmS_S_.has_dyn_sized_stack, 0
	.set _Z10PingKernelPmS_S_.has_recursion, 0
	.set _Z10PingKernelPmS_S_.has_indirect_call, 0
	.section	.AMDGPU.csdata,"",@progbits
; Kernel info:
; codeLenInByte = 134600
; TotalNumSgprs: 14
; NumVgprs: 3
; ScratchSize: 0
; MemoryBound: 1
; FloatMode: 240
; IeeeMode: 1
; LDSByteSize: 0 bytes/workgroup (compile time only)
; SGPRBlocks: 0
; VGPRBlocks: 0
; NumSGPRsForWavesPerEU: 14
; NumVGPRsForWavesPerEU: 3
; Occupancy: 16
; WaveLimiterHint : 0
; COMPUTE_PGM_RSRC2:SCRATCH_EN: 0
; COMPUTE_PGM_RSRC2:USER_SGPR: 2
; COMPUTE_PGM_RSRC2:TRAP_HANDLER: 0
; COMPUTE_PGM_RSRC2:TGID_X_EN: 1
; COMPUTE_PGM_RSRC2:TGID_Y_EN: 0
; COMPUTE_PGM_RSRC2:TGID_Z_EN: 0
; COMPUTE_PGM_RSRC2:TIDIG_COMP_CNT: 0
	.text
	.protected	_Z10PongKernelPmS_S_    ; -- Begin function _Z10PongKernelPmS_S_
	.globl	_Z10PongKernelPmS_S_
	.p2align	8
	.type	_Z10PongKernelPmS_S_,@function
_Z10PongKernelPmS_S_:                   ; @_Z10PongKernelPmS_S_
; %bb.0:
	s_clause 0x1
	s_load_b128 s[4:7], s[0:1], 0x0
	s_load_b64 s[0:1], s[0:1], 0x10
	v_mov_b32_e32 v0, 0
	s_mov_b32 s2, 1
	s_mov_b32 s3, 0
.LBB1_1:                                ; =>This Loop Header: Depth=1
                                        ;     Child Loop BB1_3 Depth 2
                                        ;     Child Loop BB1_5 Depth 2
	;; [unrolled: 1-line block ×999, first 2 shown]
	s_wait_kmcnt 0x0
	global_load_b64 v[1:2], v0, s[4:5] scope:SCOPE_SYS
	s_wait_loadcnt 0x0
	v_cmp_ne_u64_e32 vcc_lo, s[2:3], v[1:2]
	s_cbranch_vccnz .LBB1_1
; %bb.2:                                ;   in Loop: Header=BB1_1 Depth=1
	v_dual_mov_b32 v1, s2 :: v_dual_mov_b32 v2, s3
	s_add_co_i32 s8, s2, 1
	s_mov_b32 s9, s3
	global_store_b64 v0, v[1:2], s[6:7] scope:SCOPE_SYS
.LBB1_3:                                ;   Parent Loop BB1_1 Depth=1
                                        ; =>  This Inner Loop Header: Depth=2
	global_load_b64 v[1:2], v0, s[4:5] scope:SCOPE_SYS
	s_wait_loadcnt 0x0
	s_wait_alu 0xfffe
	v_cmp_ne_u64_e32 vcc_lo, s[8:9], v[1:2]
	s_cbranch_vccnz .LBB1_3
; %bb.4:                                ;   in Loop: Header=BB1_1 Depth=1
	v_dual_mov_b32 v1, s8 :: v_dual_mov_b32 v2, s9
	s_add_co_i32 s8, s2, 2
	s_mov_b32 s9, s3
	global_store_b64 v0, v[1:2], s[6:7] scope:SCOPE_SYS
.LBB1_5:                                ;   Parent Loop BB1_1 Depth=1
                                        ; =>  This Inner Loop Header: Depth=2
	global_load_b64 v[1:2], v0, s[4:5] scope:SCOPE_SYS
	s_wait_loadcnt 0x0
	s_wait_alu 0xfffe
	v_cmp_ne_u64_e32 vcc_lo, s[8:9], v[1:2]
	s_cbranch_vccnz .LBB1_5
	;; [unrolled: 12-line block ×4, first 2 shown]
; %bb.10:                               ;   in Loop: Header=BB1_1 Depth=1
	v_dual_mov_b32 v1, s8 :: v_dual_mov_b32 v2, s9
	s_add_co_i32 s8, s2, 5
	s_mov_b32 s9, s3
	global_store_b64 v0, v[1:2], s[6:7] scope:SCOPE_SYS
.LBB1_11:                               ;   Parent Loop BB1_1 Depth=1
                                        ; =>  This Inner Loop Header: Depth=2
	global_load_b64 v[1:2], v0, s[4:5] scope:SCOPE_SYS
	s_wait_loadcnt 0x0
	s_wait_alu 0xfffe
	v_cmp_ne_u64_e32 vcc_lo, s[8:9], v[1:2]
	s_cbranch_vccnz .LBB1_11
; %bb.12:                               ;   in Loop: Header=BB1_1 Depth=1
	v_dual_mov_b32 v1, s8 :: v_dual_mov_b32 v2, s9
	s_add_co_i32 s8, s2, 6
	s_mov_b32 s9, s3
	global_store_b64 v0, v[1:2], s[6:7] scope:SCOPE_SYS
.LBB1_13:                               ;   Parent Loop BB1_1 Depth=1
                                        ; =>  This Inner Loop Header: Depth=2
	global_load_b64 v[1:2], v0, s[4:5] scope:SCOPE_SYS
	s_wait_loadcnt 0x0
	s_wait_alu 0xfffe
	v_cmp_ne_u64_e32 vcc_lo, s[8:9], v[1:2]
	s_cbranch_vccnz .LBB1_13
	;; [unrolled: 12-line block ×45, first 2 shown]
; %bb.100:                              ;   in Loop: Header=BB1_1 Depth=1
	v_dual_mov_b32 v1, s8 :: v_dual_mov_b32 v2, s9
	s_add_co_i32 s8, s2, 50
	s_mov_b32 s9, s3
	global_store_b64 v0, v[1:2], s[6:7] scope:SCOPE_SYS
.LBB1_101:                              ;   Parent Loop BB1_1 Depth=1
                                        ; =>  This Inner Loop Header: Depth=2
	global_load_b64 v[1:2], v0, s[4:5] scope:SCOPE_SYS
	s_wait_loadcnt 0x0
	s_wait_alu 0xfffe
	v_cmp_ne_u64_e32 vcc_lo, s[8:9], v[1:2]
	s_cbranch_vccnz .LBB1_101
; %bb.102:                              ;   in Loop: Header=BB1_1 Depth=1
	v_dual_mov_b32 v1, s8 :: v_dual_mov_b32 v2, s9
	s_add_co_i32 s8, s2, 51
	s_mov_b32 s9, s3
	global_store_b64 v0, v[1:2], s[6:7] scope:SCOPE_SYS
.LBB1_103:                              ;   Parent Loop BB1_1 Depth=1
                                        ; =>  This Inner Loop Header: Depth=2
	global_load_b64 v[1:2], v0, s[4:5] scope:SCOPE_SYS
	s_wait_loadcnt 0x0
	s_wait_alu 0xfffe
	v_cmp_ne_u64_e32 vcc_lo, s[8:9], v[1:2]
	s_cbranch_vccnz .LBB1_103
	;; [unrolled: 12-line block ×450, first 2 shown]
; %bb.1000:                             ;   in Loop: Header=BB1_1 Depth=1
	v_dual_mov_b32 v1, s8 :: v_dual_mov_b32 v2, s9
	s_add_co_i32 s8, s2, 0x1f4
	s_mov_b32 s9, s3
	global_store_b64 v0, v[1:2], s[6:7] scope:SCOPE_SYS
.LBB1_1001:                             ;   Parent Loop BB1_1 Depth=1
                                        ; =>  This Inner Loop Header: Depth=2
	global_load_b64 v[1:2], v0, s[4:5] scope:SCOPE_SYS
	s_wait_loadcnt 0x0
	s_wait_alu 0xfffe
	v_cmp_ne_u64_e32 vcc_lo, s[8:9], v[1:2]
	s_cbranch_vccnz .LBB1_1001
; %bb.1002:                             ;   in Loop: Header=BB1_1 Depth=1
	v_dual_mov_b32 v1, s8 :: v_dual_mov_b32 v2, s9
	s_add_co_i32 s8, s2, 0x1f5
	s_mov_b32 s9, s3
	global_store_b64 v0, v[1:2], s[6:7] scope:SCOPE_SYS
.LBB1_1003:                             ;   Parent Loop BB1_1 Depth=1
                                        ; =>  This Inner Loop Header: Depth=2
	global_load_b64 v[1:2], v0, s[4:5] scope:SCOPE_SYS
	s_wait_loadcnt 0x0
	s_wait_alu 0xfffe
	v_cmp_ne_u64_e32 vcc_lo, s[8:9], v[1:2]
	s_cbranch_vccnz .LBB1_1003
; %bb.1004:                             ;   in Loop: Header=BB1_1 Depth=1
	v_dual_mov_b32 v1, s8 :: v_dual_mov_b32 v2, s9
	s_add_co_i32 s8, s2, 0x1f6
	s_mov_b32 s9, s3
	global_store_b64 v0, v[1:2], s[6:7] scope:SCOPE_SYS
.LBB1_1005:                             ;   Parent Loop BB1_1 Depth=1
                                        ; =>  This Inner Loop Header: Depth=2
	global_load_b64 v[1:2], v0, s[4:5] scope:SCOPE_SYS
	s_wait_loadcnt 0x0
	s_wait_alu 0xfffe
	v_cmp_ne_u64_e32 vcc_lo, s[8:9], v[1:2]
	s_cbranch_vccnz .LBB1_1005
; %bb.1006:                             ;   in Loop: Header=BB1_1 Depth=1
	v_dual_mov_b32 v1, s8 :: v_dual_mov_b32 v2, s9
	s_add_co_i32 s8, s2, 0x1f7
	s_mov_b32 s9, s3
	global_store_b64 v0, v[1:2], s[6:7] scope:SCOPE_SYS
.LBB1_1007:                             ;   Parent Loop BB1_1 Depth=1
                                        ; =>  This Inner Loop Header: Depth=2
	global_load_b64 v[1:2], v0, s[4:5] scope:SCOPE_SYS
	s_wait_loadcnt 0x0
	s_wait_alu 0xfffe
	v_cmp_ne_u64_e32 vcc_lo, s[8:9], v[1:2]
	s_cbranch_vccnz .LBB1_1007
; %bb.1008:                             ;   in Loop: Header=BB1_1 Depth=1
	v_dual_mov_b32 v1, s8 :: v_dual_mov_b32 v2, s9
	s_add_co_i32 s8, s2, 0x1f8
	s_mov_b32 s9, s3
	global_store_b64 v0, v[1:2], s[6:7] scope:SCOPE_SYS
.LBB1_1009:                             ;   Parent Loop BB1_1 Depth=1
                                        ; =>  This Inner Loop Header: Depth=2
	global_load_b64 v[1:2], v0, s[4:5] scope:SCOPE_SYS
	s_wait_loadcnt 0x0
	s_wait_alu 0xfffe
	v_cmp_ne_u64_e32 vcc_lo, s[8:9], v[1:2]
	s_cbranch_vccnz .LBB1_1009
; %bb.1010:                             ;   in Loop: Header=BB1_1 Depth=1
	v_dual_mov_b32 v1, s8 :: v_dual_mov_b32 v2, s9
	s_add_co_i32 s8, s2, 0x1f9
	s_mov_b32 s9, s3
	global_store_b64 v0, v[1:2], s[6:7] scope:SCOPE_SYS
.LBB1_1011:                             ;   Parent Loop BB1_1 Depth=1
                                        ; =>  This Inner Loop Header: Depth=2
	global_load_b64 v[1:2], v0, s[4:5] scope:SCOPE_SYS
	s_wait_loadcnt 0x0
	s_wait_alu 0xfffe
	v_cmp_ne_u64_e32 vcc_lo, s[8:9], v[1:2]
	s_cbranch_vccnz .LBB1_1011
; %bb.1012:                             ;   in Loop: Header=BB1_1 Depth=1
	v_dual_mov_b32 v1, s8 :: v_dual_mov_b32 v2, s9
	s_add_co_i32 s8, s2, 0x1fa
	s_mov_b32 s9, s3
	global_store_b64 v0, v[1:2], s[6:7] scope:SCOPE_SYS
.LBB1_1013:                             ;   Parent Loop BB1_1 Depth=1
                                        ; =>  This Inner Loop Header: Depth=2
	global_load_b64 v[1:2], v0, s[4:5] scope:SCOPE_SYS
	s_wait_loadcnt 0x0
	s_wait_alu 0xfffe
	v_cmp_ne_u64_e32 vcc_lo, s[8:9], v[1:2]
	s_cbranch_vccnz .LBB1_1013
; %bb.1014:                             ;   in Loop: Header=BB1_1 Depth=1
	v_dual_mov_b32 v1, s8 :: v_dual_mov_b32 v2, s9
	s_add_co_i32 s8, s2, 0x1fb
	s_mov_b32 s9, s3
	global_store_b64 v0, v[1:2], s[6:7] scope:SCOPE_SYS
.LBB1_1015:                             ;   Parent Loop BB1_1 Depth=1
                                        ; =>  This Inner Loop Header: Depth=2
	global_load_b64 v[1:2], v0, s[4:5] scope:SCOPE_SYS
	s_wait_loadcnt 0x0
	s_wait_alu 0xfffe
	v_cmp_ne_u64_e32 vcc_lo, s[8:9], v[1:2]
	s_cbranch_vccnz .LBB1_1015
; %bb.1016:                             ;   in Loop: Header=BB1_1 Depth=1
	v_dual_mov_b32 v1, s8 :: v_dual_mov_b32 v2, s9
	s_add_co_i32 s8, s2, 0x1fc
	s_mov_b32 s9, s3
	global_store_b64 v0, v[1:2], s[6:7] scope:SCOPE_SYS
.LBB1_1017:                             ;   Parent Loop BB1_1 Depth=1
                                        ; =>  This Inner Loop Header: Depth=2
	global_load_b64 v[1:2], v0, s[4:5] scope:SCOPE_SYS
	s_wait_loadcnt 0x0
	s_wait_alu 0xfffe
	v_cmp_ne_u64_e32 vcc_lo, s[8:9], v[1:2]
	s_cbranch_vccnz .LBB1_1017
; %bb.1018:                             ;   in Loop: Header=BB1_1 Depth=1
	v_dual_mov_b32 v1, s8 :: v_dual_mov_b32 v2, s9
	s_add_co_i32 s8, s2, 0x1fd
	s_mov_b32 s9, s3
	global_store_b64 v0, v[1:2], s[6:7] scope:SCOPE_SYS
.LBB1_1019:                             ;   Parent Loop BB1_1 Depth=1
                                        ; =>  This Inner Loop Header: Depth=2
	global_load_b64 v[1:2], v0, s[4:5] scope:SCOPE_SYS
	s_wait_loadcnt 0x0
	s_wait_alu 0xfffe
	v_cmp_ne_u64_e32 vcc_lo, s[8:9], v[1:2]
	s_cbranch_vccnz .LBB1_1019
; %bb.1020:                             ;   in Loop: Header=BB1_1 Depth=1
	v_dual_mov_b32 v1, s8 :: v_dual_mov_b32 v2, s9
	s_add_co_i32 s8, s2, 0x1fe
	s_mov_b32 s9, s3
	global_store_b64 v0, v[1:2], s[6:7] scope:SCOPE_SYS
.LBB1_1021:                             ;   Parent Loop BB1_1 Depth=1
                                        ; =>  This Inner Loop Header: Depth=2
	global_load_b64 v[1:2], v0, s[4:5] scope:SCOPE_SYS
	s_wait_loadcnt 0x0
	s_wait_alu 0xfffe
	v_cmp_ne_u64_e32 vcc_lo, s[8:9], v[1:2]
	s_cbranch_vccnz .LBB1_1021
; %bb.1022:                             ;   in Loop: Header=BB1_1 Depth=1
	v_dual_mov_b32 v1, s8 :: v_dual_mov_b32 v2, s9
	s_add_co_i32 s8, s2, 0x1ff
	s_mov_b32 s9, s3
	global_store_b64 v0, v[1:2], s[6:7] scope:SCOPE_SYS
.LBB1_1023:                             ;   Parent Loop BB1_1 Depth=1
                                        ; =>  This Inner Loop Header: Depth=2
	global_load_b64 v[1:2], v0, s[4:5] scope:SCOPE_SYS
	s_wait_loadcnt 0x0
	s_wait_alu 0xfffe
	v_cmp_ne_u64_e32 vcc_lo, s[8:9], v[1:2]
	s_cbranch_vccnz .LBB1_1023
; %bb.1024:                             ;   in Loop: Header=BB1_1 Depth=1
	v_dual_mov_b32 v1, s8 :: v_dual_mov_b32 v2, s9
	s_add_co_i32 s8, s2, 0x200
	s_mov_b32 s9, s3
	global_store_b64 v0, v[1:2], s[6:7] scope:SCOPE_SYS
.LBB1_1025:                             ;   Parent Loop BB1_1 Depth=1
                                        ; =>  This Inner Loop Header: Depth=2
	global_load_b64 v[1:2], v0, s[4:5] scope:SCOPE_SYS
	s_wait_loadcnt 0x0
	s_wait_alu 0xfffe
	v_cmp_ne_u64_e32 vcc_lo, s[8:9], v[1:2]
	s_cbranch_vccnz .LBB1_1025
; %bb.1026:                             ;   in Loop: Header=BB1_1 Depth=1
	v_dual_mov_b32 v1, s8 :: v_dual_mov_b32 v2, s9
	s_add_co_i32 s8, s2, 0x201
	s_mov_b32 s9, s3
	global_store_b64 v0, v[1:2], s[6:7] scope:SCOPE_SYS
.LBB1_1027:                             ;   Parent Loop BB1_1 Depth=1
                                        ; =>  This Inner Loop Header: Depth=2
	global_load_b64 v[1:2], v0, s[4:5] scope:SCOPE_SYS
	s_wait_loadcnt 0x0
	s_wait_alu 0xfffe
	v_cmp_ne_u64_e32 vcc_lo, s[8:9], v[1:2]
	s_cbranch_vccnz .LBB1_1027
; %bb.1028:                             ;   in Loop: Header=BB1_1 Depth=1
	v_dual_mov_b32 v1, s8 :: v_dual_mov_b32 v2, s9
	s_add_co_i32 s8, s2, 0x202
	s_mov_b32 s9, s3
	global_store_b64 v0, v[1:2], s[6:7] scope:SCOPE_SYS
.LBB1_1029:                             ;   Parent Loop BB1_1 Depth=1
                                        ; =>  This Inner Loop Header: Depth=2
	global_load_b64 v[1:2], v0, s[4:5] scope:SCOPE_SYS
	s_wait_loadcnt 0x0
	s_wait_alu 0xfffe
	v_cmp_ne_u64_e32 vcc_lo, s[8:9], v[1:2]
	s_cbranch_vccnz .LBB1_1029
; %bb.1030:                             ;   in Loop: Header=BB1_1 Depth=1
	v_dual_mov_b32 v1, s8 :: v_dual_mov_b32 v2, s9
	s_add_co_i32 s8, s2, 0x203
	s_mov_b32 s9, s3
	global_store_b64 v0, v[1:2], s[6:7] scope:SCOPE_SYS
.LBB1_1031:                             ;   Parent Loop BB1_1 Depth=1
                                        ; =>  This Inner Loop Header: Depth=2
	global_load_b64 v[1:2], v0, s[4:5] scope:SCOPE_SYS
	s_wait_loadcnt 0x0
	s_wait_alu 0xfffe
	v_cmp_ne_u64_e32 vcc_lo, s[8:9], v[1:2]
	s_cbranch_vccnz .LBB1_1031
; %bb.1032:                             ;   in Loop: Header=BB1_1 Depth=1
	v_dual_mov_b32 v1, s8 :: v_dual_mov_b32 v2, s9
	s_add_co_i32 s8, s2, 0x204
	s_mov_b32 s9, s3
	global_store_b64 v0, v[1:2], s[6:7] scope:SCOPE_SYS
.LBB1_1033:                             ;   Parent Loop BB1_1 Depth=1
                                        ; =>  This Inner Loop Header: Depth=2
	global_load_b64 v[1:2], v0, s[4:5] scope:SCOPE_SYS
	s_wait_loadcnt 0x0
	s_wait_alu 0xfffe
	v_cmp_ne_u64_e32 vcc_lo, s[8:9], v[1:2]
	s_cbranch_vccnz .LBB1_1033
; %bb.1034:                             ;   in Loop: Header=BB1_1 Depth=1
	v_dual_mov_b32 v1, s8 :: v_dual_mov_b32 v2, s9
	s_add_co_i32 s8, s2, 0x205
	s_mov_b32 s9, s3
	global_store_b64 v0, v[1:2], s[6:7] scope:SCOPE_SYS
.LBB1_1035:                             ;   Parent Loop BB1_1 Depth=1
                                        ; =>  This Inner Loop Header: Depth=2
	global_load_b64 v[1:2], v0, s[4:5] scope:SCOPE_SYS
	s_wait_loadcnt 0x0
	s_wait_alu 0xfffe
	v_cmp_ne_u64_e32 vcc_lo, s[8:9], v[1:2]
	s_cbranch_vccnz .LBB1_1035
; %bb.1036:                             ;   in Loop: Header=BB1_1 Depth=1
	v_dual_mov_b32 v1, s8 :: v_dual_mov_b32 v2, s9
	s_add_co_i32 s8, s2, 0x206
	s_mov_b32 s9, s3
	global_store_b64 v0, v[1:2], s[6:7] scope:SCOPE_SYS
.LBB1_1037:                             ;   Parent Loop BB1_1 Depth=1
                                        ; =>  This Inner Loop Header: Depth=2
	global_load_b64 v[1:2], v0, s[4:5] scope:SCOPE_SYS
	s_wait_loadcnt 0x0
	s_wait_alu 0xfffe
	v_cmp_ne_u64_e32 vcc_lo, s[8:9], v[1:2]
	s_cbranch_vccnz .LBB1_1037
; %bb.1038:                             ;   in Loop: Header=BB1_1 Depth=1
	v_dual_mov_b32 v1, s8 :: v_dual_mov_b32 v2, s9
	s_add_co_i32 s8, s2, 0x207
	s_mov_b32 s9, s3
	global_store_b64 v0, v[1:2], s[6:7] scope:SCOPE_SYS
.LBB1_1039:                             ;   Parent Loop BB1_1 Depth=1
                                        ; =>  This Inner Loop Header: Depth=2
	global_load_b64 v[1:2], v0, s[4:5] scope:SCOPE_SYS
	s_wait_loadcnt 0x0
	s_wait_alu 0xfffe
	v_cmp_ne_u64_e32 vcc_lo, s[8:9], v[1:2]
	s_cbranch_vccnz .LBB1_1039
; %bb.1040:                             ;   in Loop: Header=BB1_1 Depth=1
	v_dual_mov_b32 v1, s8 :: v_dual_mov_b32 v2, s9
	s_add_co_i32 s8, s2, 0x208
	s_mov_b32 s9, s3
	global_store_b64 v0, v[1:2], s[6:7] scope:SCOPE_SYS
.LBB1_1041:                             ;   Parent Loop BB1_1 Depth=1
                                        ; =>  This Inner Loop Header: Depth=2
	global_load_b64 v[1:2], v0, s[4:5] scope:SCOPE_SYS
	s_wait_loadcnt 0x0
	s_wait_alu 0xfffe
	v_cmp_ne_u64_e32 vcc_lo, s[8:9], v[1:2]
	s_cbranch_vccnz .LBB1_1041
; %bb.1042:                             ;   in Loop: Header=BB1_1 Depth=1
	v_dual_mov_b32 v1, s8 :: v_dual_mov_b32 v2, s9
	s_add_co_i32 s8, s2, 0x209
	s_mov_b32 s9, s3
	global_store_b64 v0, v[1:2], s[6:7] scope:SCOPE_SYS
.LBB1_1043:                             ;   Parent Loop BB1_1 Depth=1
                                        ; =>  This Inner Loop Header: Depth=2
	global_load_b64 v[1:2], v0, s[4:5] scope:SCOPE_SYS
	s_wait_loadcnt 0x0
	s_wait_alu 0xfffe
	v_cmp_ne_u64_e32 vcc_lo, s[8:9], v[1:2]
	s_cbranch_vccnz .LBB1_1043
; %bb.1044:                             ;   in Loop: Header=BB1_1 Depth=1
	v_dual_mov_b32 v1, s8 :: v_dual_mov_b32 v2, s9
	s_add_co_i32 s8, s2, 0x20a
	s_mov_b32 s9, s3
	global_store_b64 v0, v[1:2], s[6:7] scope:SCOPE_SYS
.LBB1_1045:                             ;   Parent Loop BB1_1 Depth=1
                                        ; =>  This Inner Loop Header: Depth=2
	global_load_b64 v[1:2], v0, s[4:5] scope:SCOPE_SYS
	s_wait_loadcnt 0x0
	s_wait_alu 0xfffe
	v_cmp_ne_u64_e32 vcc_lo, s[8:9], v[1:2]
	s_cbranch_vccnz .LBB1_1045
; %bb.1046:                             ;   in Loop: Header=BB1_1 Depth=1
	v_dual_mov_b32 v1, s8 :: v_dual_mov_b32 v2, s9
	s_add_co_i32 s8, s2, 0x20b
	s_mov_b32 s9, s3
	global_store_b64 v0, v[1:2], s[6:7] scope:SCOPE_SYS
.LBB1_1047:                             ;   Parent Loop BB1_1 Depth=1
                                        ; =>  This Inner Loop Header: Depth=2
	global_load_b64 v[1:2], v0, s[4:5] scope:SCOPE_SYS
	s_wait_loadcnt 0x0
	s_wait_alu 0xfffe
	v_cmp_ne_u64_e32 vcc_lo, s[8:9], v[1:2]
	s_cbranch_vccnz .LBB1_1047
; %bb.1048:                             ;   in Loop: Header=BB1_1 Depth=1
	v_dual_mov_b32 v1, s8 :: v_dual_mov_b32 v2, s9
	s_add_co_i32 s8, s2, 0x20c
	s_mov_b32 s9, s3
	global_store_b64 v0, v[1:2], s[6:7] scope:SCOPE_SYS
.LBB1_1049:                             ;   Parent Loop BB1_1 Depth=1
                                        ; =>  This Inner Loop Header: Depth=2
	global_load_b64 v[1:2], v0, s[4:5] scope:SCOPE_SYS
	s_wait_loadcnt 0x0
	s_wait_alu 0xfffe
	v_cmp_ne_u64_e32 vcc_lo, s[8:9], v[1:2]
	s_cbranch_vccnz .LBB1_1049
; %bb.1050:                             ;   in Loop: Header=BB1_1 Depth=1
	v_dual_mov_b32 v1, s8 :: v_dual_mov_b32 v2, s9
	s_add_co_i32 s8, s2, 0x20d
	s_mov_b32 s9, s3
	global_store_b64 v0, v[1:2], s[6:7] scope:SCOPE_SYS
.LBB1_1051:                             ;   Parent Loop BB1_1 Depth=1
                                        ; =>  This Inner Loop Header: Depth=2
	global_load_b64 v[1:2], v0, s[4:5] scope:SCOPE_SYS
	s_wait_loadcnt 0x0
	s_wait_alu 0xfffe
	v_cmp_ne_u64_e32 vcc_lo, s[8:9], v[1:2]
	s_cbranch_vccnz .LBB1_1051
; %bb.1052:                             ;   in Loop: Header=BB1_1 Depth=1
	v_dual_mov_b32 v1, s8 :: v_dual_mov_b32 v2, s9
	s_add_co_i32 s8, s2, 0x20e
	s_mov_b32 s9, s3
	global_store_b64 v0, v[1:2], s[6:7] scope:SCOPE_SYS
.LBB1_1053:                             ;   Parent Loop BB1_1 Depth=1
                                        ; =>  This Inner Loop Header: Depth=2
	global_load_b64 v[1:2], v0, s[4:5] scope:SCOPE_SYS
	s_wait_loadcnt 0x0
	s_wait_alu 0xfffe
	v_cmp_ne_u64_e32 vcc_lo, s[8:9], v[1:2]
	s_cbranch_vccnz .LBB1_1053
; %bb.1054:                             ;   in Loop: Header=BB1_1 Depth=1
	v_dual_mov_b32 v1, s8 :: v_dual_mov_b32 v2, s9
	s_add_co_i32 s8, s2, 0x20f
	s_mov_b32 s9, s3
	global_store_b64 v0, v[1:2], s[6:7] scope:SCOPE_SYS
.LBB1_1055:                             ;   Parent Loop BB1_1 Depth=1
                                        ; =>  This Inner Loop Header: Depth=2
	global_load_b64 v[1:2], v0, s[4:5] scope:SCOPE_SYS
	s_wait_loadcnt 0x0
	s_wait_alu 0xfffe
	v_cmp_ne_u64_e32 vcc_lo, s[8:9], v[1:2]
	s_cbranch_vccnz .LBB1_1055
; %bb.1056:                             ;   in Loop: Header=BB1_1 Depth=1
	v_dual_mov_b32 v1, s8 :: v_dual_mov_b32 v2, s9
	s_add_co_i32 s8, s2, 0x210
	s_mov_b32 s9, s3
	global_store_b64 v0, v[1:2], s[6:7] scope:SCOPE_SYS
.LBB1_1057:                             ;   Parent Loop BB1_1 Depth=1
                                        ; =>  This Inner Loop Header: Depth=2
	global_load_b64 v[1:2], v0, s[4:5] scope:SCOPE_SYS
	s_wait_loadcnt 0x0
	s_wait_alu 0xfffe
	v_cmp_ne_u64_e32 vcc_lo, s[8:9], v[1:2]
	s_cbranch_vccnz .LBB1_1057
; %bb.1058:                             ;   in Loop: Header=BB1_1 Depth=1
	v_dual_mov_b32 v1, s8 :: v_dual_mov_b32 v2, s9
	s_add_co_i32 s8, s2, 0x211
	s_mov_b32 s9, s3
	global_store_b64 v0, v[1:2], s[6:7] scope:SCOPE_SYS
.LBB1_1059:                             ;   Parent Loop BB1_1 Depth=1
                                        ; =>  This Inner Loop Header: Depth=2
	global_load_b64 v[1:2], v0, s[4:5] scope:SCOPE_SYS
	s_wait_loadcnt 0x0
	s_wait_alu 0xfffe
	v_cmp_ne_u64_e32 vcc_lo, s[8:9], v[1:2]
	s_cbranch_vccnz .LBB1_1059
; %bb.1060:                             ;   in Loop: Header=BB1_1 Depth=1
	v_dual_mov_b32 v1, s8 :: v_dual_mov_b32 v2, s9
	s_add_co_i32 s8, s2, 0x212
	s_mov_b32 s9, s3
	global_store_b64 v0, v[1:2], s[6:7] scope:SCOPE_SYS
.LBB1_1061:                             ;   Parent Loop BB1_1 Depth=1
                                        ; =>  This Inner Loop Header: Depth=2
	global_load_b64 v[1:2], v0, s[4:5] scope:SCOPE_SYS
	s_wait_loadcnt 0x0
	s_wait_alu 0xfffe
	v_cmp_ne_u64_e32 vcc_lo, s[8:9], v[1:2]
	s_cbranch_vccnz .LBB1_1061
; %bb.1062:                             ;   in Loop: Header=BB1_1 Depth=1
	v_dual_mov_b32 v1, s8 :: v_dual_mov_b32 v2, s9
	s_add_co_i32 s8, s2, 0x213
	s_mov_b32 s9, s3
	global_store_b64 v0, v[1:2], s[6:7] scope:SCOPE_SYS
.LBB1_1063:                             ;   Parent Loop BB1_1 Depth=1
                                        ; =>  This Inner Loop Header: Depth=2
	global_load_b64 v[1:2], v0, s[4:5] scope:SCOPE_SYS
	s_wait_loadcnt 0x0
	s_wait_alu 0xfffe
	v_cmp_ne_u64_e32 vcc_lo, s[8:9], v[1:2]
	s_cbranch_vccnz .LBB1_1063
; %bb.1064:                             ;   in Loop: Header=BB1_1 Depth=1
	v_dual_mov_b32 v1, s8 :: v_dual_mov_b32 v2, s9
	s_add_co_i32 s8, s2, 0x214
	s_mov_b32 s9, s3
	global_store_b64 v0, v[1:2], s[6:7] scope:SCOPE_SYS
.LBB1_1065:                             ;   Parent Loop BB1_1 Depth=1
                                        ; =>  This Inner Loop Header: Depth=2
	global_load_b64 v[1:2], v0, s[4:5] scope:SCOPE_SYS
	s_wait_loadcnt 0x0
	s_wait_alu 0xfffe
	v_cmp_ne_u64_e32 vcc_lo, s[8:9], v[1:2]
	s_cbranch_vccnz .LBB1_1065
; %bb.1066:                             ;   in Loop: Header=BB1_1 Depth=1
	v_dual_mov_b32 v1, s8 :: v_dual_mov_b32 v2, s9
	s_add_co_i32 s8, s2, 0x215
	s_mov_b32 s9, s3
	global_store_b64 v0, v[1:2], s[6:7] scope:SCOPE_SYS
.LBB1_1067:                             ;   Parent Loop BB1_1 Depth=1
                                        ; =>  This Inner Loop Header: Depth=2
	global_load_b64 v[1:2], v0, s[4:5] scope:SCOPE_SYS
	s_wait_loadcnt 0x0
	s_wait_alu 0xfffe
	v_cmp_ne_u64_e32 vcc_lo, s[8:9], v[1:2]
	s_cbranch_vccnz .LBB1_1067
; %bb.1068:                             ;   in Loop: Header=BB1_1 Depth=1
	v_dual_mov_b32 v1, s8 :: v_dual_mov_b32 v2, s9
	s_add_co_i32 s8, s2, 0x216
	s_mov_b32 s9, s3
	global_store_b64 v0, v[1:2], s[6:7] scope:SCOPE_SYS
.LBB1_1069:                             ;   Parent Loop BB1_1 Depth=1
                                        ; =>  This Inner Loop Header: Depth=2
	global_load_b64 v[1:2], v0, s[4:5] scope:SCOPE_SYS
	s_wait_loadcnt 0x0
	s_wait_alu 0xfffe
	v_cmp_ne_u64_e32 vcc_lo, s[8:9], v[1:2]
	s_cbranch_vccnz .LBB1_1069
; %bb.1070:                             ;   in Loop: Header=BB1_1 Depth=1
	v_dual_mov_b32 v1, s8 :: v_dual_mov_b32 v2, s9
	s_add_co_i32 s8, s2, 0x217
	s_mov_b32 s9, s3
	global_store_b64 v0, v[1:2], s[6:7] scope:SCOPE_SYS
.LBB1_1071:                             ;   Parent Loop BB1_1 Depth=1
                                        ; =>  This Inner Loop Header: Depth=2
	global_load_b64 v[1:2], v0, s[4:5] scope:SCOPE_SYS
	s_wait_loadcnt 0x0
	s_wait_alu 0xfffe
	v_cmp_ne_u64_e32 vcc_lo, s[8:9], v[1:2]
	s_cbranch_vccnz .LBB1_1071
; %bb.1072:                             ;   in Loop: Header=BB1_1 Depth=1
	v_dual_mov_b32 v1, s8 :: v_dual_mov_b32 v2, s9
	s_add_co_i32 s8, s2, 0x218
	s_mov_b32 s9, s3
	global_store_b64 v0, v[1:2], s[6:7] scope:SCOPE_SYS
.LBB1_1073:                             ;   Parent Loop BB1_1 Depth=1
                                        ; =>  This Inner Loop Header: Depth=2
	global_load_b64 v[1:2], v0, s[4:5] scope:SCOPE_SYS
	s_wait_loadcnt 0x0
	s_wait_alu 0xfffe
	v_cmp_ne_u64_e32 vcc_lo, s[8:9], v[1:2]
	s_cbranch_vccnz .LBB1_1073
; %bb.1074:                             ;   in Loop: Header=BB1_1 Depth=1
	v_dual_mov_b32 v1, s8 :: v_dual_mov_b32 v2, s9
	s_add_co_i32 s8, s2, 0x219
	s_mov_b32 s9, s3
	global_store_b64 v0, v[1:2], s[6:7] scope:SCOPE_SYS
.LBB1_1075:                             ;   Parent Loop BB1_1 Depth=1
                                        ; =>  This Inner Loop Header: Depth=2
	global_load_b64 v[1:2], v0, s[4:5] scope:SCOPE_SYS
	s_wait_loadcnt 0x0
	s_wait_alu 0xfffe
	v_cmp_ne_u64_e32 vcc_lo, s[8:9], v[1:2]
	s_cbranch_vccnz .LBB1_1075
; %bb.1076:                             ;   in Loop: Header=BB1_1 Depth=1
	v_dual_mov_b32 v1, s8 :: v_dual_mov_b32 v2, s9
	s_add_co_i32 s8, s2, 0x21a
	s_mov_b32 s9, s3
	global_store_b64 v0, v[1:2], s[6:7] scope:SCOPE_SYS
.LBB1_1077:                             ;   Parent Loop BB1_1 Depth=1
                                        ; =>  This Inner Loop Header: Depth=2
	global_load_b64 v[1:2], v0, s[4:5] scope:SCOPE_SYS
	s_wait_loadcnt 0x0
	s_wait_alu 0xfffe
	v_cmp_ne_u64_e32 vcc_lo, s[8:9], v[1:2]
	s_cbranch_vccnz .LBB1_1077
; %bb.1078:                             ;   in Loop: Header=BB1_1 Depth=1
	v_dual_mov_b32 v1, s8 :: v_dual_mov_b32 v2, s9
	s_add_co_i32 s8, s2, 0x21b
	s_mov_b32 s9, s3
	global_store_b64 v0, v[1:2], s[6:7] scope:SCOPE_SYS
.LBB1_1079:                             ;   Parent Loop BB1_1 Depth=1
                                        ; =>  This Inner Loop Header: Depth=2
	global_load_b64 v[1:2], v0, s[4:5] scope:SCOPE_SYS
	s_wait_loadcnt 0x0
	s_wait_alu 0xfffe
	v_cmp_ne_u64_e32 vcc_lo, s[8:9], v[1:2]
	s_cbranch_vccnz .LBB1_1079
; %bb.1080:                             ;   in Loop: Header=BB1_1 Depth=1
	v_dual_mov_b32 v1, s8 :: v_dual_mov_b32 v2, s9
	s_add_co_i32 s8, s2, 0x21c
	s_mov_b32 s9, s3
	global_store_b64 v0, v[1:2], s[6:7] scope:SCOPE_SYS
.LBB1_1081:                             ;   Parent Loop BB1_1 Depth=1
                                        ; =>  This Inner Loop Header: Depth=2
	global_load_b64 v[1:2], v0, s[4:5] scope:SCOPE_SYS
	s_wait_loadcnt 0x0
	s_wait_alu 0xfffe
	v_cmp_ne_u64_e32 vcc_lo, s[8:9], v[1:2]
	s_cbranch_vccnz .LBB1_1081
; %bb.1082:                             ;   in Loop: Header=BB1_1 Depth=1
	v_dual_mov_b32 v1, s8 :: v_dual_mov_b32 v2, s9
	s_add_co_i32 s8, s2, 0x21d
	s_mov_b32 s9, s3
	global_store_b64 v0, v[1:2], s[6:7] scope:SCOPE_SYS
.LBB1_1083:                             ;   Parent Loop BB1_1 Depth=1
                                        ; =>  This Inner Loop Header: Depth=2
	global_load_b64 v[1:2], v0, s[4:5] scope:SCOPE_SYS
	s_wait_loadcnt 0x0
	s_wait_alu 0xfffe
	v_cmp_ne_u64_e32 vcc_lo, s[8:9], v[1:2]
	s_cbranch_vccnz .LBB1_1083
; %bb.1084:                             ;   in Loop: Header=BB1_1 Depth=1
	v_dual_mov_b32 v1, s8 :: v_dual_mov_b32 v2, s9
	s_add_co_i32 s8, s2, 0x21e
	s_mov_b32 s9, s3
	global_store_b64 v0, v[1:2], s[6:7] scope:SCOPE_SYS
.LBB1_1085:                             ;   Parent Loop BB1_1 Depth=1
                                        ; =>  This Inner Loop Header: Depth=2
	global_load_b64 v[1:2], v0, s[4:5] scope:SCOPE_SYS
	s_wait_loadcnt 0x0
	s_wait_alu 0xfffe
	v_cmp_ne_u64_e32 vcc_lo, s[8:9], v[1:2]
	s_cbranch_vccnz .LBB1_1085
; %bb.1086:                             ;   in Loop: Header=BB1_1 Depth=1
	v_dual_mov_b32 v1, s8 :: v_dual_mov_b32 v2, s9
	s_add_co_i32 s8, s2, 0x21f
	s_mov_b32 s9, s3
	global_store_b64 v0, v[1:2], s[6:7] scope:SCOPE_SYS
.LBB1_1087:                             ;   Parent Loop BB1_1 Depth=1
                                        ; =>  This Inner Loop Header: Depth=2
	global_load_b64 v[1:2], v0, s[4:5] scope:SCOPE_SYS
	s_wait_loadcnt 0x0
	s_wait_alu 0xfffe
	v_cmp_ne_u64_e32 vcc_lo, s[8:9], v[1:2]
	s_cbranch_vccnz .LBB1_1087
; %bb.1088:                             ;   in Loop: Header=BB1_1 Depth=1
	v_dual_mov_b32 v1, s8 :: v_dual_mov_b32 v2, s9
	s_add_co_i32 s8, s2, 0x220
	s_mov_b32 s9, s3
	global_store_b64 v0, v[1:2], s[6:7] scope:SCOPE_SYS
.LBB1_1089:                             ;   Parent Loop BB1_1 Depth=1
                                        ; =>  This Inner Loop Header: Depth=2
	global_load_b64 v[1:2], v0, s[4:5] scope:SCOPE_SYS
	s_wait_loadcnt 0x0
	s_wait_alu 0xfffe
	v_cmp_ne_u64_e32 vcc_lo, s[8:9], v[1:2]
	s_cbranch_vccnz .LBB1_1089
; %bb.1090:                             ;   in Loop: Header=BB1_1 Depth=1
	v_dual_mov_b32 v1, s8 :: v_dual_mov_b32 v2, s9
	s_add_co_i32 s8, s2, 0x221
	s_mov_b32 s9, s3
	global_store_b64 v0, v[1:2], s[6:7] scope:SCOPE_SYS
.LBB1_1091:                             ;   Parent Loop BB1_1 Depth=1
                                        ; =>  This Inner Loop Header: Depth=2
	global_load_b64 v[1:2], v0, s[4:5] scope:SCOPE_SYS
	s_wait_loadcnt 0x0
	s_wait_alu 0xfffe
	v_cmp_ne_u64_e32 vcc_lo, s[8:9], v[1:2]
	s_cbranch_vccnz .LBB1_1091
; %bb.1092:                             ;   in Loop: Header=BB1_1 Depth=1
	v_dual_mov_b32 v1, s8 :: v_dual_mov_b32 v2, s9
	s_add_co_i32 s8, s2, 0x222
	s_mov_b32 s9, s3
	global_store_b64 v0, v[1:2], s[6:7] scope:SCOPE_SYS
.LBB1_1093:                             ;   Parent Loop BB1_1 Depth=1
                                        ; =>  This Inner Loop Header: Depth=2
	global_load_b64 v[1:2], v0, s[4:5] scope:SCOPE_SYS
	s_wait_loadcnt 0x0
	s_wait_alu 0xfffe
	v_cmp_ne_u64_e32 vcc_lo, s[8:9], v[1:2]
	s_cbranch_vccnz .LBB1_1093
; %bb.1094:                             ;   in Loop: Header=BB1_1 Depth=1
	v_dual_mov_b32 v1, s8 :: v_dual_mov_b32 v2, s9
	s_add_co_i32 s8, s2, 0x223
	s_mov_b32 s9, s3
	global_store_b64 v0, v[1:2], s[6:7] scope:SCOPE_SYS
.LBB1_1095:                             ;   Parent Loop BB1_1 Depth=1
                                        ; =>  This Inner Loop Header: Depth=2
	global_load_b64 v[1:2], v0, s[4:5] scope:SCOPE_SYS
	s_wait_loadcnt 0x0
	s_wait_alu 0xfffe
	v_cmp_ne_u64_e32 vcc_lo, s[8:9], v[1:2]
	s_cbranch_vccnz .LBB1_1095
; %bb.1096:                             ;   in Loop: Header=BB1_1 Depth=1
	v_dual_mov_b32 v1, s8 :: v_dual_mov_b32 v2, s9
	s_add_co_i32 s8, s2, 0x224
	s_mov_b32 s9, s3
	global_store_b64 v0, v[1:2], s[6:7] scope:SCOPE_SYS
.LBB1_1097:                             ;   Parent Loop BB1_1 Depth=1
                                        ; =>  This Inner Loop Header: Depth=2
	global_load_b64 v[1:2], v0, s[4:5] scope:SCOPE_SYS
	s_wait_loadcnt 0x0
	s_wait_alu 0xfffe
	v_cmp_ne_u64_e32 vcc_lo, s[8:9], v[1:2]
	s_cbranch_vccnz .LBB1_1097
; %bb.1098:                             ;   in Loop: Header=BB1_1 Depth=1
	v_dual_mov_b32 v1, s8 :: v_dual_mov_b32 v2, s9
	s_add_co_i32 s8, s2, 0x225
	s_mov_b32 s9, s3
	global_store_b64 v0, v[1:2], s[6:7] scope:SCOPE_SYS
.LBB1_1099:                             ;   Parent Loop BB1_1 Depth=1
                                        ; =>  This Inner Loop Header: Depth=2
	global_load_b64 v[1:2], v0, s[4:5] scope:SCOPE_SYS
	s_wait_loadcnt 0x0
	s_wait_alu 0xfffe
	v_cmp_ne_u64_e32 vcc_lo, s[8:9], v[1:2]
	s_cbranch_vccnz .LBB1_1099
; %bb.1100:                             ;   in Loop: Header=BB1_1 Depth=1
	v_dual_mov_b32 v1, s8 :: v_dual_mov_b32 v2, s9
	s_add_co_i32 s8, s2, 0x226
	s_mov_b32 s9, s3
	global_store_b64 v0, v[1:2], s[6:7] scope:SCOPE_SYS
.LBB1_1101:                             ;   Parent Loop BB1_1 Depth=1
                                        ; =>  This Inner Loop Header: Depth=2
	global_load_b64 v[1:2], v0, s[4:5] scope:SCOPE_SYS
	s_wait_loadcnt 0x0
	s_wait_alu 0xfffe
	v_cmp_ne_u64_e32 vcc_lo, s[8:9], v[1:2]
	s_cbranch_vccnz .LBB1_1101
; %bb.1102:                             ;   in Loop: Header=BB1_1 Depth=1
	v_dual_mov_b32 v1, s8 :: v_dual_mov_b32 v2, s9
	s_add_co_i32 s8, s2, 0x227
	s_mov_b32 s9, s3
	global_store_b64 v0, v[1:2], s[6:7] scope:SCOPE_SYS
.LBB1_1103:                             ;   Parent Loop BB1_1 Depth=1
                                        ; =>  This Inner Loop Header: Depth=2
	global_load_b64 v[1:2], v0, s[4:5] scope:SCOPE_SYS
	s_wait_loadcnt 0x0
	s_wait_alu 0xfffe
	v_cmp_ne_u64_e32 vcc_lo, s[8:9], v[1:2]
	s_cbranch_vccnz .LBB1_1103
; %bb.1104:                             ;   in Loop: Header=BB1_1 Depth=1
	v_dual_mov_b32 v1, s8 :: v_dual_mov_b32 v2, s9
	s_add_co_i32 s8, s2, 0x228
	s_mov_b32 s9, s3
	global_store_b64 v0, v[1:2], s[6:7] scope:SCOPE_SYS
.LBB1_1105:                             ;   Parent Loop BB1_1 Depth=1
                                        ; =>  This Inner Loop Header: Depth=2
	global_load_b64 v[1:2], v0, s[4:5] scope:SCOPE_SYS
	s_wait_loadcnt 0x0
	s_wait_alu 0xfffe
	v_cmp_ne_u64_e32 vcc_lo, s[8:9], v[1:2]
	s_cbranch_vccnz .LBB1_1105
; %bb.1106:                             ;   in Loop: Header=BB1_1 Depth=1
	v_dual_mov_b32 v1, s8 :: v_dual_mov_b32 v2, s9
	s_add_co_i32 s8, s2, 0x229
	s_mov_b32 s9, s3
	global_store_b64 v0, v[1:2], s[6:7] scope:SCOPE_SYS
.LBB1_1107:                             ;   Parent Loop BB1_1 Depth=1
                                        ; =>  This Inner Loop Header: Depth=2
	global_load_b64 v[1:2], v0, s[4:5] scope:SCOPE_SYS
	s_wait_loadcnt 0x0
	s_wait_alu 0xfffe
	v_cmp_ne_u64_e32 vcc_lo, s[8:9], v[1:2]
	s_cbranch_vccnz .LBB1_1107
; %bb.1108:                             ;   in Loop: Header=BB1_1 Depth=1
	v_dual_mov_b32 v1, s8 :: v_dual_mov_b32 v2, s9
	s_add_co_i32 s8, s2, 0x22a
	s_mov_b32 s9, s3
	global_store_b64 v0, v[1:2], s[6:7] scope:SCOPE_SYS
.LBB1_1109:                             ;   Parent Loop BB1_1 Depth=1
                                        ; =>  This Inner Loop Header: Depth=2
	global_load_b64 v[1:2], v0, s[4:5] scope:SCOPE_SYS
	s_wait_loadcnt 0x0
	s_wait_alu 0xfffe
	v_cmp_ne_u64_e32 vcc_lo, s[8:9], v[1:2]
	s_cbranch_vccnz .LBB1_1109
; %bb.1110:                             ;   in Loop: Header=BB1_1 Depth=1
	v_dual_mov_b32 v1, s8 :: v_dual_mov_b32 v2, s9
	s_add_co_i32 s8, s2, 0x22b
	s_mov_b32 s9, s3
	global_store_b64 v0, v[1:2], s[6:7] scope:SCOPE_SYS
.LBB1_1111:                             ;   Parent Loop BB1_1 Depth=1
                                        ; =>  This Inner Loop Header: Depth=2
	global_load_b64 v[1:2], v0, s[4:5] scope:SCOPE_SYS
	s_wait_loadcnt 0x0
	s_wait_alu 0xfffe
	v_cmp_ne_u64_e32 vcc_lo, s[8:9], v[1:2]
	s_cbranch_vccnz .LBB1_1111
; %bb.1112:                             ;   in Loop: Header=BB1_1 Depth=1
	v_dual_mov_b32 v1, s8 :: v_dual_mov_b32 v2, s9
	s_add_co_i32 s8, s2, 0x22c
	s_mov_b32 s9, s3
	global_store_b64 v0, v[1:2], s[6:7] scope:SCOPE_SYS
.LBB1_1113:                             ;   Parent Loop BB1_1 Depth=1
                                        ; =>  This Inner Loop Header: Depth=2
	global_load_b64 v[1:2], v0, s[4:5] scope:SCOPE_SYS
	s_wait_loadcnt 0x0
	s_wait_alu 0xfffe
	v_cmp_ne_u64_e32 vcc_lo, s[8:9], v[1:2]
	s_cbranch_vccnz .LBB1_1113
; %bb.1114:                             ;   in Loop: Header=BB1_1 Depth=1
	v_dual_mov_b32 v1, s8 :: v_dual_mov_b32 v2, s9
	s_add_co_i32 s8, s2, 0x22d
	s_mov_b32 s9, s3
	global_store_b64 v0, v[1:2], s[6:7] scope:SCOPE_SYS
.LBB1_1115:                             ;   Parent Loop BB1_1 Depth=1
                                        ; =>  This Inner Loop Header: Depth=2
	global_load_b64 v[1:2], v0, s[4:5] scope:SCOPE_SYS
	s_wait_loadcnt 0x0
	s_wait_alu 0xfffe
	v_cmp_ne_u64_e32 vcc_lo, s[8:9], v[1:2]
	s_cbranch_vccnz .LBB1_1115
; %bb.1116:                             ;   in Loop: Header=BB1_1 Depth=1
	v_dual_mov_b32 v1, s8 :: v_dual_mov_b32 v2, s9
	s_add_co_i32 s8, s2, 0x22e
	s_mov_b32 s9, s3
	global_store_b64 v0, v[1:2], s[6:7] scope:SCOPE_SYS
.LBB1_1117:                             ;   Parent Loop BB1_1 Depth=1
                                        ; =>  This Inner Loop Header: Depth=2
	global_load_b64 v[1:2], v0, s[4:5] scope:SCOPE_SYS
	s_wait_loadcnt 0x0
	s_wait_alu 0xfffe
	v_cmp_ne_u64_e32 vcc_lo, s[8:9], v[1:2]
	s_cbranch_vccnz .LBB1_1117
; %bb.1118:                             ;   in Loop: Header=BB1_1 Depth=1
	v_dual_mov_b32 v1, s8 :: v_dual_mov_b32 v2, s9
	s_add_co_i32 s8, s2, 0x22f
	s_mov_b32 s9, s3
	global_store_b64 v0, v[1:2], s[6:7] scope:SCOPE_SYS
.LBB1_1119:                             ;   Parent Loop BB1_1 Depth=1
                                        ; =>  This Inner Loop Header: Depth=2
	global_load_b64 v[1:2], v0, s[4:5] scope:SCOPE_SYS
	s_wait_loadcnt 0x0
	s_wait_alu 0xfffe
	v_cmp_ne_u64_e32 vcc_lo, s[8:9], v[1:2]
	s_cbranch_vccnz .LBB1_1119
; %bb.1120:                             ;   in Loop: Header=BB1_1 Depth=1
	v_dual_mov_b32 v1, s8 :: v_dual_mov_b32 v2, s9
	s_add_co_i32 s8, s2, 0x230
	s_mov_b32 s9, s3
	global_store_b64 v0, v[1:2], s[6:7] scope:SCOPE_SYS
.LBB1_1121:                             ;   Parent Loop BB1_1 Depth=1
                                        ; =>  This Inner Loop Header: Depth=2
	global_load_b64 v[1:2], v0, s[4:5] scope:SCOPE_SYS
	s_wait_loadcnt 0x0
	s_wait_alu 0xfffe
	v_cmp_ne_u64_e32 vcc_lo, s[8:9], v[1:2]
	s_cbranch_vccnz .LBB1_1121
; %bb.1122:                             ;   in Loop: Header=BB1_1 Depth=1
	v_dual_mov_b32 v1, s8 :: v_dual_mov_b32 v2, s9
	s_add_co_i32 s8, s2, 0x231
	s_mov_b32 s9, s3
	global_store_b64 v0, v[1:2], s[6:7] scope:SCOPE_SYS
.LBB1_1123:                             ;   Parent Loop BB1_1 Depth=1
                                        ; =>  This Inner Loop Header: Depth=2
	global_load_b64 v[1:2], v0, s[4:5] scope:SCOPE_SYS
	s_wait_loadcnt 0x0
	s_wait_alu 0xfffe
	v_cmp_ne_u64_e32 vcc_lo, s[8:9], v[1:2]
	s_cbranch_vccnz .LBB1_1123
; %bb.1124:                             ;   in Loop: Header=BB1_1 Depth=1
	v_dual_mov_b32 v1, s8 :: v_dual_mov_b32 v2, s9
	s_add_co_i32 s8, s2, 0x232
	s_mov_b32 s9, s3
	global_store_b64 v0, v[1:2], s[6:7] scope:SCOPE_SYS
.LBB1_1125:                             ;   Parent Loop BB1_1 Depth=1
                                        ; =>  This Inner Loop Header: Depth=2
	global_load_b64 v[1:2], v0, s[4:5] scope:SCOPE_SYS
	s_wait_loadcnt 0x0
	s_wait_alu 0xfffe
	v_cmp_ne_u64_e32 vcc_lo, s[8:9], v[1:2]
	s_cbranch_vccnz .LBB1_1125
; %bb.1126:                             ;   in Loop: Header=BB1_1 Depth=1
	v_dual_mov_b32 v1, s8 :: v_dual_mov_b32 v2, s9
	s_add_co_i32 s8, s2, 0x233
	s_mov_b32 s9, s3
	global_store_b64 v0, v[1:2], s[6:7] scope:SCOPE_SYS
.LBB1_1127:                             ;   Parent Loop BB1_1 Depth=1
                                        ; =>  This Inner Loop Header: Depth=2
	global_load_b64 v[1:2], v0, s[4:5] scope:SCOPE_SYS
	s_wait_loadcnt 0x0
	s_wait_alu 0xfffe
	v_cmp_ne_u64_e32 vcc_lo, s[8:9], v[1:2]
	s_cbranch_vccnz .LBB1_1127
; %bb.1128:                             ;   in Loop: Header=BB1_1 Depth=1
	v_dual_mov_b32 v1, s8 :: v_dual_mov_b32 v2, s9
	s_add_co_i32 s8, s2, 0x234
	s_mov_b32 s9, s3
	global_store_b64 v0, v[1:2], s[6:7] scope:SCOPE_SYS
.LBB1_1129:                             ;   Parent Loop BB1_1 Depth=1
                                        ; =>  This Inner Loop Header: Depth=2
	global_load_b64 v[1:2], v0, s[4:5] scope:SCOPE_SYS
	s_wait_loadcnt 0x0
	s_wait_alu 0xfffe
	v_cmp_ne_u64_e32 vcc_lo, s[8:9], v[1:2]
	s_cbranch_vccnz .LBB1_1129
; %bb.1130:                             ;   in Loop: Header=BB1_1 Depth=1
	v_dual_mov_b32 v1, s8 :: v_dual_mov_b32 v2, s9
	s_add_co_i32 s8, s2, 0x235
	s_mov_b32 s9, s3
	global_store_b64 v0, v[1:2], s[6:7] scope:SCOPE_SYS
.LBB1_1131:                             ;   Parent Loop BB1_1 Depth=1
                                        ; =>  This Inner Loop Header: Depth=2
	global_load_b64 v[1:2], v0, s[4:5] scope:SCOPE_SYS
	s_wait_loadcnt 0x0
	s_wait_alu 0xfffe
	v_cmp_ne_u64_e32 vcc_lo, s[8:9], v[1:2]
	s_cbranch_vccnz .LBB1_1131
; %bb.1132:                             ;   in Loop: Header=BB1_1 Depth=1
	v_dual_mov_b32 v1, s8 :: v_dual_mov_b32 v2, s9
	s_add_co_i32 s8, s2, 0x236
	s_mov_b32 s9, s3
	global_store_b64 v0, v[1:2], s[6:7] scope:SCOPE_SYS
.LBB1_1133:                             ;   Parent Loop BB1_1 Depth=1
                                        ; =>  This Inner Loop Header: Depth=2
	global_load_b64 v[1:2], v0, s[4:5] scope:SCOPE_SYS
	s_wait_loadcnt 0x0
	s_wait_alu 0xfffe
	v_cmp_ne_u64_e32 vcc_lo, s[8:9], v[1:2]
	s_cbranch_vccnz .LBB1_1133
; %bb.1134:                             ;   in Loop: Header=BB1_1 Depth=1
	v_dual_mov_b32 v1, s8 :: v_dual_mov_b32 v2, s9
	s_add_co_i32 s8, s2, 0x237
	s_mov_b32 s9, s3
	global_store_b64 v0, v[1:2], s[6:7] scope:SCOPE_SYS
.LBB1_1135:                             ;   Parent Loop BB1_1 Depth=1
                                        ; =>  This Inner Loop Header: Depth=2
	global_load_b64 v[1:2], v0, s[4:5] scope:SCOPE_SYS
	s_wait_loadcnt 0x0
	s_wait_alu 0xfffe
	v_cmp_ne_u64_e32 vcc_lo, s[8:9], v[1:2]
	s_cbranch_vccnz .LBB1_1135
; %bb.1136:                             ;   in Loop: Header=BB1_1 Depth=1
	v_dual_mov_b32 v1, s8 :: v_dual_mov_b32 v2, s9
	s_add_co_i32 s8, s2, 0x238
	s_mov_b32 s9, s3
	global_store_b64 v0, v[1:2], s[6:7] scope:SCOPE_SYS
.LBB1_1137:                             ;   Parent Loop BB1_1 Depth=1
                                        ; =>  This Inner Loop Header: Depth=2
	global_load_b64 v[1:2], v0, s[4:5] scope:SCOPE_SYS
	s_wait_loadcnt 0x0
	s_wait_alu 0xfffe
	v_cmp_ne_u64_e32 vcc_lo, s[8:9], v[1:2]
	s_cbranch_vccnz .LBB1_1137
; %bb.1138:                             ;   in Loop: Header=BB1_1 Depth=1
	v_dual_mov_b32 v1, s8 :: v_dual_mov_b32 v2, s9
	s_add_co_i32 s8, s2, 0x239
	s_mov_b32 s9, s3
	global_store_b64 v0, v[1:2], s[6:7] scope:SCOPE_SYS
.LBB1_1139:                             ;   Parent Loop BB1_1 Depth=1
                                        ; =>  This Inner Loop Header: Depth=2
	global_load_b64 v[1:2], v0, s[4:5] scope:SCOPE_SYS
	s_wait_loadcnt 0x0
	s_wait_alu 0xfffe
	v_cmp_ne_u64_e32 vcc_lo, s[8:9], v[1:2]
	s_cbranch_vccnz .LBB1_1139
; %bb.1140:                             ;   in Loop: Header=BB1_1 Depth=1
	v_dual_mov_b32 v1, s8 :: v_dual_mov_b32 v2, s9
	s_add_co_i32 s8, s2, 0x23a
	s_mov_b32 s9, s3
	global_store_b64 v0, v[1:2], s[6:7] scope:SCOPE_SYS
.LBB1_1141:                             ;   Parent Loop BB1_1 Depth=1
                                        ; =>  This Inner Loop Header: Depth=2
	global_load_b64 v[1:2], v0, s[4:5] scope:SCOPE_SYS
	s_wait_loadcnt 0x0
	s_wait_alu 0xfffe
	v_cmp_ne_u64_e32 vcc_lo, s[8:9], v[1:2]
	s_cbranch_vccnz .LBB1_1141
; %bb.1142:                             ;   in Loop: Header=BB1_1 Depth=1
	v_dual_mov_b32 v1, s8 :: v_dual_mov_b32 v2, s9
	s_add_co_i32 s8, s2, 0x23b
	s_mov_b32 s9, s3
	global_store_b64 v0, v[1:2], s[6:7] scope:SCOPE_SYS
.LBB1_1143:                             ;   Parent Loop BB1_1 Depth=1
                                        ; =>  This Inner Loop Header: Depth=2
	global_load_b64 v[1:2], v0, s[4:5] scope:SCOPE_SYS
	s_wait_loadcnt 0x0
	s_wait_alu 0xfffe
	v_cmp_ne_u64_e32 vcc_lo, s[8:9], v[1:2]
	s_cbranch_vccnz .LBB1_1143
; %bb.1144:                             ;   in Loop: Header=BB1_1 Depth=1
	v_dual_mov_b32 v1, s8 :: v_dual_mov_b32 v2, s9
	s_add_co_i32 s8, s2, 0x23c
	s_mov_b32 s9, s3
	global_store_b64 v0, v[1:2], s[6:7] scope:SCOPE_SYS
.LBB1_1145:                             ;   Parent Loop BB1_1 Depth=1
                                        ; =>  This Inner Loop Header: Depth=2
	global_load_b64 v[1:2], v0, s[4:5] scope:SCOPE_SYS
	s_wait_loadcnt 0x0
	s_wait_alu 0xfffe
	v_cmp_ne_u64_e32 vcc_lo, s[8:9], v[1:2]
	s_cbranch_vccnz .LBB1_1145
; %bb.1146:                             ;   in Loop: Header=BB1_1 Depth=1
	v_dual_mov_b32 v1, s8 :: v_dual_mov_b32 v2, s9
	s_add_co_i32 s8, s2, 0x23d
	s_mov_b32 s9, s3
	global_store_b64 v0, v[1:2], s[6:7] scope:SCOPE_SYS
.LBB1_1147:                             ;   Parent Loop BB1_1 Depth=1
                                        ; =>  This Inner Loop Header: Depth=2
	global_load_b64 v[1:2], v0, s[4:5] scope:SCOPE_SYS
	s_wait_loadcnt 0x0
	s_wait_alu 0xfffe
	v_cmp_ne_u64_e32 vcc_lo, s[8:9], v[1:2]
	s_cbranch_vccnz .LBB1_1147
; %bb.1148:                             ;   in Loop: Header=BB1_1 Depth=1
	v_dual_mov_b32 v1, s8 :: v_dual_mov_b32 v2, s9
	s_add_co_i32 s8, s2, 0x23e
	s_mov_b32 s9, s3
	global_store_b64 v0, v[1:2], s[6:7] scope:SCOPE_SYS
.LBB1_1149:                             ;   Parent Loop BB1_1 Depth=1
                                        ; =>  This Inner Loop Header: Depth=2
	global_load_b64 v[1:2], v0, s[4:5] scope:SCOPE_SYS
	s_wait_loadcnt 0x0
	s_wait_alu 0xfffe
	v_cmp_ne_u64_e32 vcc_lo, s[8:9], v[1:2]
	s_cbranch_vccnz .LBB1_1149
; %bb.1150:                             ;   in Loop: Header=BB1_1 Depth=1
	v_dual_mov_b32 v1, s8 :: v_dual_mov_b32 v2, s9
	s_add_co_i32 s8, s2, 0x23f
	s_mov_b32 s9, s3
	global_store_b64 v0, v[1:2], s[6:7] scope:SCOPE_SYS
.LBB1_1151:                             ;   Parent Loop BB1_1 Depth=1
                                        ; =>  This Inner Loop Header: Depth=2
	global_load_b64 v[1:2], v0, s[4:5] scope:SCOPE_SYS
	s_wait_loadcnt 0x0
	s_wait_alu 0xfffe
	v_cmp_ne_u64_e32 vcc_lo, s[8:9], v[1:2]
	s_cbranch_vccnz .LBB1_1151
; %bb.1152:                             ;   in Loop: Header=BB1_1 Depth=1
	v_dual_mov_b32 v1, s8 :: v_dual_mov_b32 v2, s9
	s_add_co_i32 s8, s2, 0x240
	s_mov_b32 s9, s3
	global_store_b64 v0, v[1:2], s[6:7] scope:SCOPE_SYS
.LBB1_1153:                             ;   Parent Loop BB1_1 Depth=1
                                        ; =>  This Inner Loop Header: Depth=2
	global_load_b64 v[1:2], v0, s[4:5] scope:SCOPE_SYS
	s_wait_loadcnt 0x0
	s_wait_alu 0xfffe
	v_cmp_ne_u64_e32 vcc_lo, s[8:9], v[1:2]
	s_cbranch_vccnz .LBB1_1153
; %bb.1154:                             ;   in Loop: Header=BB1_1 Depth=1
	v_dual_mov_b32 v1, s8 :: v_dual_mov_b32 v2, s9
	s_add_co_i32 s8, s2, 0x241
	s_mov_b32 s9, s3
	global_store_b64 v0, v[1:2], s[6:7] scope:SCOPE_SYS
.LBB1_1155:                             ;   Parent Loop BB1_1 Depth=1
                                        ; =>  This Inner Loop Header: Depth=2
	global_load_b64 v[1:2], v0, s[4:5] scope:SCOPE_SYS
	s_wait_loadcnt 0x0
	s_wait_alu 0xfffe
	v_cmp_ne_u64_e32 vcc_lo, s[8:9], v[1:2]
	s_cbranch_vccnz .LBB1_1155
; %bb.1156:                             ;   in Loop: Header=BB1_1 Depth=1
	v_dual_mov_b32 v1, s8 :: v_dual_mov_b32 v2, s9
	s_add_co_i32 s8, s2, 0x242
	s_mov_b32 s9, s3
	global_store_b64 v0, v[1:2], s[6:7] scope:SCOPE_SYS
.LBB1_1157:                             ;   Parent Loop BB1_1 Depth=1
                                        ; =>  This Inner Loop Header: Depth=2
	global_load_b64 v[1:2], v0, s[4:5] scope:SCOPE_SYS
	s_wait_loadcnt 0x0
	s_wait_alu 0xfffe
	v_cmp_ne_u64_e32 vcc_lo, s[8:9], v[1:2]
	s_cbranch_vccnz .LBB1_1157
; %bb.1158:                             ;   in Loop: Header=BB1_1 Depth=1
	v_dual_mov_b32 v1, s8 :: v_dual_mov_b32 v2, s9
	s_add_co_i32 s8, s2, 0x243
	s_mov_b32 s9, s3
	global_store_b64 v0, v[1:2], s[6:7] scope:SCOPE_SYS
.LBB1_1159:                             ;   Parent Loop BB1_1 Depth=1
                                        ; =>  This Inner Loop Header: Depth=2
	global_load_b64 v[1:2], v0, s[4:5] scope:SCOPE_SYS
	s_wait_loadcnt 0x0
	s_wait_alu 0xfffe
	v_cmp_ne_u64_e32 vcc_lo, s[8:9], v[1:2]
	s_cbranch_vccnz .LBB1_1159
; %bb.1160:                             ;   in Loop: Header=BB1_1 Depth=1
	v_dual_mov_b32 v1, s8 :: v_dual_mov_b32 v2, s9
	s_add_co_i32 s8, s2, 0x244
	s_mov_b32 s9, s3
	global_store_b64 v0, v[1:2], s[6:7] scope:SCOPE_SYS
.LBB1_1161:                             ;   Parent Loop BB1_1 Depth=1
                                        ; =>  This Inner Loop Header: Depth=2
	global_load_b64 v[1:2], v0, s[4:5] scope:SCOPE_SYS
	s_wait_loadcnt 0x0
	s_wait_alu 0xfffe
	v_cmp_ne_u64_e32 vcc_lo, s[8:9], v[1:2]
	s_cbranch_vccnz .LBB1_1161
; %bb.1162:                             ;   in Loop: Header=BB1_1 Depth=1
	v_dual_mov_b32 v1, s8 :: v_dual_mov_b32 v2, s9
	s_add_co_i32 s8, s2, 0x245
	s_mov_b32 s9, s3
	global_store_b64 v0, v[1:2], s[6:7] scope:SCOPE_SYS
.LBB1_1163:                             ;   Parent Loop BB1_1 Depth=1
                                        ; =>  This Inner Loop Header: Depth=2
	global_load_b64 v[1:2], v0, s[4:5] scope:SCOPE_SYS
	s_wait_loadcnt 0x0
	s_wait_alu 0xfffe
	v_cmp_ne_u64_e32 vcc_lo, s[8:9], v[1:2]
	s_cbranch_vccnz .LBB1_1163
; %bb.1164:                             ;   in Loop: Header=BB1_1 Depth=1
	v_dual_mov_b32 v1, s8 :: v_dual_mov_b32 v2, s9
	s_add_co_i32 s8, s2, 0x246
	s_mov_b32 s9, s3
	global_store_b64 v0, v[1:2], s[6:7] scope:SCOPE_SYS
.LBB1_1165:                             ;   Parent Loop BB1_1 Depth=1
                                        ; =>  This Inner Loop Header: Depth=2
	global_load_b64 v[1:2], v0, s[4:5] scope:SCOPE_SYS
	s_wait_loadcnt 0x0
	s_wait_alu 0xfffe
	v_cmp_ne_u64_e32 vcc_lo, s[8:9], v[1:2]
	s_cbranch_vccnz .LBB1_1165
; %bb.1166:                             ;   in Loop: Header=BB1_1 Depth=1
	v_dual_mov_b32 v1, s8 :: v_dual_mov_b32 v2, s9
	s_add_co_i32 s8, s2, 0x247
	s_mov_b32 s9, s3
	global_store_b64 v0, v[1:2], s[6:7] scope:SCOPE_SYS
.LBB1_1167:                             ;   Parent Loop BB1_1 Depth=1
                                        ; =>  This Inner Loop Header: Depth=2
	global_load_b64 v[1:2], v0, s[4:5] scope:SCOPE_SYS
	s_wait_loadcnt 0x0
	s_wait_alu 0xfffe
	v_cmp_ne_u64_e32 vcc_lo, s[8:9], v[1:2]
	s_cbranch_vccnz .LBB1_1167
; %bb.1168:                             ;   in Loop: Header=BB1_1 Depth=1
	v_dual_mov_b32 v1, s8 :: v_dual_mov_b32 v2, s9
	s_add_co_i32 s8, s2, 0x248
	s_mov_b32 s9, s3
	global_store_b64 v0, v[1:2], s[6:7] scope:SCOPE_SYS
.LBB1_1169:                             ;   Parent Loop BB1_1 Depth=1
                                        ; =>  This Inner Loop Header: Depth=2
	global_load_b64 v[1:2], v0, s[4:5] scope:SCOPE_SYS
	s_wait_loadcnt 0x0
	s_wait_alu 0xfffe
	v_cmp_ne_u64_e32 vcc_lo, s[8:9], v[1:2]
	s_cbranch_vccnz .LBB1_1169
; %bb.1170:                             ;   in Loop: Header=BB1_1 Depth=1
	v_dual_mov_b32 v1, s8 :: v_dual_mov_b32 v2, s9
	s_add_co_i32 s8, s2, 0x249
	s_mov_b32 s9, s3
	global_store_b64 v0, v[1:2], s[6:7] scope:SCOPE_SYS
.LBB1_1171:                             ;   Parent Loop BB1_1 Depth=1
                                        ; =>  This Inner Loop Header: Depth=2
	global_load_b64 v[1:2], v0, s[4:5] scope:SCOPE_SYS
	s_wait_loadcnt 0x0
	s_wait_alu 0xfffe
	v_cmp_ne_u64_e32 vcc_lo, s[8:9], v[1:2]
	s_cbranch_vccnz .LBB1_1171
; %bb.1172:                             ;   in Loop: Header=BB1_1 Depth=1
	v_dual_mov_b32 v1, s8 :: v_dual_mov_b32 v2, s9
	s_add_co_i32 s8, s2, 0x24a
	s_mov_b32 s9, s3
	global_store_b64 v0, v[1:2], s[6:7] scope:SCOPE_SYS
.LBB1_1173:                             ;   Parent Loop BB1_1 Depth=1
                                        ; =>  This Inner Loop Header: Depth=2
	global_load_b64 v[1:2], v0, s[4:5] scope:SCOPE_SYS
	s_wait_loadcnt 0x0
	s_wait_alu 0xfffe
	v_cmp_ne_u64_e32 vcc_lo, s[8:9], v[1:2]
	s_cbranch_vccnz .LBB1_1173
; %bb.1174:                             ;   in Loop: Header=BB1_1 Depth=1
	v_dual_mov_b32 v1, s8 :: v_dual_mov_b32 v2, s9
	s_add_co_i32 s8, s2, 0x24b
	s_mov_b32 s9, s3
	global_store_b64 v0, v[1:2], s[6:7] scope:SCOPE_SYS
.LBB1_1175:                             ;   Parent Loop BB1_1 Depth=1
                                        ; =>  This Inner Loop Header: Depth=2
	global_load_b64 v[1:2], v0, s[4:5] scope:SCOPE_SYS
	s_wait_loadcnt 0x0
	s_wait_alu 0xfffe
	v_cmp_ne_u64_e32 vcc_lo, s[8:9], v[1:2]
	s_cbranch_vccnz .LBB1_1175
; %bb.1176:                             ;   in Loop: Header=BB1_1 Depth=1
	v_dual_mov_b32 v1, s8 :: v_dual_mov_b32 v2, s9
	s_add_co_i32 s8, s2, 0x24c
	s_mov_b32 s9, s3
	global_store_b64 v0, v[1:2], s[6:7] scope:SCOPE_SYS
.LBB1_1177:                             ;   Parent Loop BB1_1 Depth=1
                                        ; =>  This Inner Loop Header: Depth=2
	global_load_b64 v[1:2], v0, s[4:5] scope:SCOPE_SYS
	s_wait_loadcnt 0x0
	s_wait_alu 0xfffe
	v_cmp_ne_u64_e32 vcc_lo, s[8:9], v[1:2]
	s_cbranch_vccnz .LBB1_1177
; %bb.1178:                             ;   in Loop: Header=BB1_1 Depth=1
	v_dual_mov_b32 v1, s8 :: v_dual_mov_b32 v2, s9
	s_add_co_i32 s8, s2, 0x24d
	s_mov_b32 s9, s3
	global_store_b64 v0, v[1:2], s[6:7] scope:SCOPE_SYS
.LBB1_1179:                             ;   Parent Loop BB1_1 Depth=1
                                        ; =>  This Inner Loop Header: Depth=2
	global_load_b64 v[1:2], v0, s[4:5] scope:SCOPE_SYS
	s_wait_loadcnt 0x0
	s_wait_alu 0xfffe
	v_cmp_ne_u64_e32 vcc_lo, s[8:9], v[1:2]
	s_cbranch_vccnz .LBB1_1179
; %bb.1180:                             ;   in Loop: Header=BB1_1 Depth=1
	v_dual_mov_b32 v1, s8 :: v_dual_mov_b32 v2, s9
	s_add_co_i32 s8, s2, 0x24e
	s_mov_b32 s9, s3
	global_store_b64 v0, v[1:2], s[6:7] scope:SCOPE_SYS
.LBB1_1181:                             ;   Parent Loop BB1_1 Depth=1
                                        ; =>  This Inner Loop Header: Depth=2
	global_load_b64 v[1:2], v0, s[4:5] scope:SCOPE_SYS
	s_wait_loadcnt 0x0
	s_wait_alu 0xfffe
	v_cmp_ne_u64_e32 vcc_lo, s[8:9], v[1:2]
	s_cbranch_vccnz .LBB1_1181
; %bb.1182:                             ;   in Loop: Header=BB1_1 Depth=1
	v_dual_mov_b32 v1, s8 :: v_dual_mov_b32 v2, s9
	s_add_co_i32 s8, s2, 0x24f
	s_mov_b32 s9, s3
	global_store_b64 v0, v[1:2], s[6:7] scope:SCOPE_SYS
.LBB1_1183:                             ;   Parent Loop BB1_1 Depth=1
                                        ; =>  This Inner Loop Header: Depth=2
	global_load_b64 v[1:2], v0, s[4:5] scope:SCOPE_SYS
	s_wait_loadcnt 0x0
	s_wait_alu 0xfffe
	v_cmp_ne_u64_e32 vcc_lo, s[8:9], v[1:2]
	s_cbranch_vccnz .LBB1_1183
; %bb.1184:                             ;   in Loop: Header=BB1_1 Depth=1
	v_dual_mov_b32 v1, s8 :: v_dual_mov_b32 v2, s9
	s_add_co_i32 s8, s2, 0x250
	s_mov_b32 s9, s3
	global_store_b64 v0, v[1:2], s[6:7] scope:SCOPE_SYS
.LBB1_1185:                             ;   Parent Loop BB1_1 Depth=1
                                        ; =>  This Inner Loop Header: Depth=2
	global_load_b64 v[1:2], v0, s[4:5] scope:SCOPE_SYS
	s_wait_loadcnt 0x0
	s_wait_alu 0xfffe
	v_cmp_ne_u64_e32 vcc_lo, s[8:9], v[1:2]
	s_cbranch_vccnz .LBB1_1185
; %bb.1186:                             ;   in Loop: Header=BB1_1 Depth=1
	v_dual_mov_b32 v1, s8 :: v_dual_mov_b32 v2, s9
	s_add_co_i32 s8, s2, 0x251
	s_mov_b32 s9, s3
	global_store_b64 v0, v[1:2], s[6:7] scope:SCOPE_SYS
.LBB1_1187:                             ;   Parent Loop BB1_1 Depth=1
                                        ; =>  This Inner Loop Header: Depth=2
	global_load_b64 v[1:2], v0, s[4:5] scope:SCOPE_SYS
	s_wait_loadcnt 0x0
	s_wait_alu 0xfffe
	v_cmp_ne_u64_e32 vcc_lo, s[8:9], v[1:2]
	s_cbranch_vccnz .LBB1_1187
; %bb.1188:                             ;   in Loop: Header=BB1_1 Depth=1
	v_dual_mov_b32 v1, s8 :: v_dual_mov_b32 v2, s9
	s_add_co_i32 s8, s2, 0x252
	s_mov_b32 s9, s3
	global_store_b64 v0, v[1:2], s[6:7] scope:SCOPE_SYS
.LBB1_1189:                             ;   Parent Loop BB1_1 Depth=1
                                        ; =>  This Inner Loop Header: Depth=2
	global_load_b64 v[1:2], v0, s[4:5] scope:SCOPE_SYS
	s_wait_loadcnt 0x0
	s_wait_alu 0xfffe
	v_cmp_ne_u64_e32 vcc_lo, s[8:9], v[1:2]
	s_cbranch_vccnz .LBB1_1189
; %bb.1190:                             ;   in Loop: Header=BB1_1 Depth=1
	v_dual_mov_b32 v1, s8 :: v_dual_mov_b32 v2, s9
	s_add_co_i32 s8, s2, 0x253
	s_mov_b32 s9, s3
	global_store_b64 v0, v[1:2], s[6:7] scope:SCOPE_SYS
.LBB1_1191:                             ;   Parent Loop BB1_1 Depth=1
                                        ; =>  This Inner Loop Header: Depth=2
	global_load_b64 v[1:2], v0, s[4:5] scope:SCOPE_SYS
	s_wait_loadcnt 0x0
	s_wait_alu 0xfffe
	v_cmp_ne_u64_e32 vcc_lo, s[8:9], v[1:2]
	s_cbranch_vccnz .LBB1_1191
; %bb.1192:                             ;   in Loop: Header=BB1_1 Depth=1
	v_dual_mov_b32 v1, s8 :: v_dual_mov_b32 v2, s9
	s_add_co_i32 s8, s2, 0x254
	s_mov_b32 s9, s3
	global_store_b64 v0, v[1:2], s[6:7] scope:SCOPE_SYS
.LBB1_1193:                             ;   Parent Loop BB1_1 Depth=1
                                        ; =>  This Inner Loop Header: Depth=2
	global_load_b64 v[1:2], v0, s[4:5] scope:SCOPE_SYS
	s_wait_loadcnt 0x0
	s_wait_alu 0xfffe
	v_cmp_ne_u64_e32 vcc_lo, s[8:9], v[1:2]
	s_cbranch_vccnz .LBB1_1193
; %bb.1194:                             ;   in Loop: Header=BB1_1 Depth=1
	v_dual_mov_b32 v1, s8 :: v_dual_mov_b32 v2, s9
	s_add_co_i32 s8, s2, 0x255
	s_mov_b32 s9, s3
	global_store_b64 v0, v[1:2], s[6:7] scope:SCOPE_SYS
.LBB1_1195:                             ;   Parent Loop BB1_1 Depth=1
                                        ; =>  This Inner Loop Header: Depth=2
	global_load_b64 v[1:2], v0, s[4:5] scope:SCOPE_SYS
	s_wait_loadcnt 0x0
	s_wait_alu 0xfffe
	v_cmp_ne_u64_e32 vcc_lo, s[8:9], v[1:2]
	s_cbranch_vccnz .LBB1_1195
; %bb.1196:                             ;   in Loop: Header=BB1_1 Depth=1
	v_dual_mov_b32 v1, s8 :: v_dual_mov_b32 v2, s9
	s_add_co_i32 s8, s2, 0x256
	s_mov_b32 s9, s3
	global_store_b64 v0, v[1:2], s[6:7] scope:SCOPE_SYS
.LBB1_1197:                             ;   Parent Loop BB1_1 Depth=1
                                        ; =>  This Inner Loop Header: Depth=2
	global_load_b64 v[1:2], v0, s[4:5] scope:SCOPE_SYS
	s_wait_loadcnt 0x0
	s_wait_alu 0xfffe
	v_cmp_ne_u64_e32 vcc_lo, s[8:9], v[1:2]
	s_cbranch_vccnz .LBB1_1197
; %bb.1198:                             ;   in Loop: Header=BB1_1 Depth=1
	v_dual_mov_b32 v1, s8 :: v_dual_mov_b32 v2, s9
	s_add_co_i32 s8, s2, 0x257
	s_mov_b32 s9, s3
	global_store_b64 v0, v[1:2], s[6:7] scope:SCOPE_SYS
.LBB1_1199:                             ;   Parent Loop BB1_1 Depth=1
                                        ; =>  This Inner Loop Header: Depth=2
	global_load_b64 v[1:2], v0, s[4:5] scope:SCOPE_SYS
	s_wait_loadcnt 0x0
	s_wait_alu 0xfffe
	v_cmp_ne_u64_e32 vcc_lo, s[8:9], v[1:2]
	s_cbranch_vccnz .LBB1_1199
; %bb.1200:                             ;   in Loop: Header=BB1_1 Depth=1
	v_dual_mov_b32 v1, s8 :: v_dual_mov_b32 v2, s9
	s_add_co_i32 s8, s2, 0x258
	s_mov_b32 s9, s3
	global_store_b64 v0, v[1:2], s[6:7] scope:SCOPE_SYS
.LBB1_1201:                             ;   Parent Loop BB1_1 Depth=1
                                        ; =>  This Inner Loop Header: Depth=2
	global_load_b64 v[1:2], v0, s[4:5] scope:SCOPE_SYS
	s_wait_loadcnt 0x0
	s_wait_alu 0xfffe
	v_cmp_ne_u64_e32 vcc_lo, s[8:9], v[1:2]
	s_cbranch_vccnz .LBB1_1201
; %bb.1202:                             ;   in Loop: Header=BB1_1 Depth=1
	v_dual_mov_b32 v1, s8 :: v_dual_mov_b32 v2, s9
	s_add_co_i32 s8, s2, 0x259
	s_mov_b32 s9, s3
	global_store_b64 v0, v[1:2], s[6:7] scope:SCOPE_SYS
.LBB1_1203:                             ;   Parent Loop BB1_1 Depth=1
                                        ; =>  This Inner Loop Header: Depth=2
	global_load_b64 v[1:2], v0, s[4:5] scope:SCOPE_SYS
	s_wait_loadcnt 0x0
	s_wait_alu 0xfffe
	v_cmp_ne_u64_e32 vcc_lo, s[8:9], v[1:2]
	s_cbranch_vccnz .LBB1_1203
; %bb.1204:                             ;   in Loop: Header=BB1_1 Depth=1
	v_dual_mov_b32 v1, s8 :: v_dual_mov_b32 v2, s9
	s_add_co_i32 s8, s2, 0x25a
	s_mov_b32 s9, s3
	global_store_b64 v0, v[1:2], s[6:7] scope:SCOPE_SYS
.LBB1_1205:                             ;   Parent Loop BB1_1 Depth=1
                                        ; =>  This Inner Loop Header: Depth=2
	global_load_b64 v[1:2], v0, s[4:5] scope:SCOPE_SYS
	s_wait_loadcnt 0x0
	s_wait_alu 0xfffe
	v_cmp_ne_u64_e32 vcc_lo, s[8:9], v[1:2]
	s_cbranch_vccnz .LBB1_1205
; %bb.1206:                             ;   in Loop: Header=BB1_1 Depth=1
	v_dual_mov_b32 v1, s8 :: v_dual_mov_b32 v2, s9
	s_add_co_i32 s8, s2, 0x25b
	s_mov_b32 s9, s3
	global_store_b64 v0, v[1:2], s[6:7] scope:SCOPE_SYS
.LBB1_1207:                             ;   Parent Loop BB1_1 Depth=1
                                        ; =>  This Inner Loop Header: Depth=2
	global_load_b64 v[1:2], v0, s[4:5] scope:SCOPE_SYS
	s_wait_loadcnt 0x0
	s_wait_alu 0xfffe
	v_cmp_ne_u64_e32 vcc_lo, s[8:9], v[1:2]
	s_cbranch_vccnz .LBB1_1207
; %bb.1208:                             ;   in Loop: Header=BB1_1 Depth=1
	v_dual_mov_b32 v1, s8 :: v_dual_mov_b32 v2, s9
	s_add_co_i32 s8, s2, 0x25c
	s_mov_b32 s9, s3
	global_store_b64 v0, v[1:2], s[6:7] scope:SCOPE_SYS
.LBB1_1209:                             ;   Parent Loop BB1_1 Depth=1
                                        ; =>  This Inner Loop Header: Depth=2
	global_load_b64 v[1:2], v0, s[4:5] scope:SCOPE_SYS
	s_wait_loadcnt 0x0
	s_wait_alu 0xfffe
	v_cmp_ne_u64_e32 vcc_lo, s[8:9], v[1:2]
	s_cbranch_vccnz .LBB1_1209
; %bb.1210:                             ;   in Loop: Header=BB1_1 Depth=1
	v_dual_mov_b32 v1, s8 :: v_dual_mov_b32 v2, s9
	s_add_co_i32 s8, s2, 0x25d
	s_mov_b32 s9, s3
	global_store_b64 v0, v[1:2], s[6:7] scope:SCOPE_SYS
.LBB1_1211:                             ;   Parent Loop BB1_1 Depth=1
                                        ; =>  This Inner Loop Header: Depth=2
	global_load_b64 v[1:2], v0, s[4:5] scope:SCOPE_SYS
	s_wait_loadcnt 0x0
	s_wait_alu 0xfffe
	v_cmp_ne_u64_e32 vcc_lo, s[8:9], v[1:2]
	s_cbranch_vccnz .LBB1_1211
; %bb.1212:                             ;   in Loop: Header=BB1_1 Depth=1
	v_dual_mov_b32 v1, s8 :: v_dual_mov_b32 v2, s9
	s_add_co_i32 s8, s2, 0x25e
	s_mov_b32 s9, s3
	global_store_b64 v0, v[1:2], s[6:7] scope:SCOPE_SYS
.LBB1_1213:                             ;   Parent Loop BB1_1 Depth=1
                                        ; =>  This Inner Loop Header: Depth=2
	global_load_b64 v[1:2], v0, s[4:5] scope:SCOPE_SYS
	s_wait_loadcnt 0x0
	s_wait_alu 0xfffe
	v_cmp_ne_u64_e32 vcc_lo, s[8:9], v[1:2]
	s_cbranch_vccnz .LBB1_1213
; %bb.1214:                             ;   in Loop: Header=BB1_1 Depth=1
	v_dual_mov_b32 v1, s8 :: v_dual_mov_b32 v2, s9
	s_add_co_i32 s8, s2, 0x25f
	s_mov_b32 s9, s3
	global_store_b64 v0, v[1:2], s[6:7] scope:SCOPE_SYS
.LBB1_1215:                             ;   Parent Loop BB1_1 Depth=1
                                        ; =>  This Inner Loop Header: Depth=2
	global_load_b64 v[1:2], v0, s[4:5] scope:SCOPE_SYS
	s_wait_loadcnt 0x0
	s_wait_alu 0xfffe
	v_cmp_ne_u64_e32 vcc_lo, s[8:9], v[1:2]
	s_cbranch_vccnz .LBB1_1215
; %bb.1216:                             ;   in Loop: Header=BB1_1 Depth=1
	v_dual_mov_b32 v1, s8 :: v_dual_mov_b32 v2, s9
	s_add_co_i32 s8, s2, 0x260
	s_mov_b32 s9, s3
	global_store_b64 v0, v[1:2], s[6:7] scope:SCOPE_SYS
.LBB1_1217:                             ;   Parent Loop BB1_1 Depth=1
                                        ; =>  This Inner Loop Header: Depth=2
	global_load_b64 v[1:2], v0, s[4:5] scope:SCOPE_SYS
	s_wait_loadcnt 0x0
	s_wait_alu 0xfffe
	v_cmp_ne_u64_e32 vcc_lo, s[8:9], v[1:2]
	s_cbranch_vccnz .LBB1_1217
; %bb.1218:                             ;   in Loop: Header=BB1_1 Depth=1
	v_dual_mov_b32 v1, s8 :: v_dual_mov_b32 v2, s9
	s_add_co_i32 s8, s2, 0x261
	s_mov_b32 s9, s3
	global_store_b64 v0, v[1:2], s[6:7] scope:SCOPE_SYS
.LBB1_1219:                             ;   Parent Loop BB1_1 Depth=1
                                        ; =>  This Inner Loop Header: Depth=2
	global_load_b64 v[1:2], v0, s[4:5] scope:SCOPE_SYS
	s_wait_loadcnt 0x0
	s_wait_alu 0xfffe
	v_cmp_ne_u64_e32 vcc_lo, s[8:9], v[1:2]
	s_cbranch_vccnz .LBB1_1219
; %bb.1220:                             ;   in Loop: Header=BB1_1 Depth=1
	v_dual_mov_b32 v1, s8 :: v_dual_mov_b32 v2, s9
	s_add_co_i32 s8, s2, 0x262
	s_mov_b32 s9, s3
	global_store_b64 v0, v[1:2], s[6:7] scope:SCOPE_SYS
.LBB1_1221:                             ;   Parent Loop BB1_1 Depth=1
                                        ; =>  This Inner Loop Header: Depth=2
	global_load_b64 v[1:2], v0, s[4:5] scope:SCOPE_SYS
	s_wait_loadcnt 0x0
	s_wait_alu 0xfffe
	v_cmp_ne_u64_e32 vcc_lo, s[8:9], v[1:2]
	s_cbranch_vccnz .LBB1_1221
; %bb.1222:                             ;   in Loop: Header=BB1_1 Depth=1
	v_dual_mov_b32 v1, s8 :: v_dual_mov_b32 v2, s9
	s_add_co_i32 s8, s2, 0x263
	s_mov_b32 s9, s3
	global_store_b64 v0, v[1:2], s[6:7] scope:SCOPE_SYS
.LBB1_1223:                             ;   Parent Loop BB1_1 Depth=1
                                        ; =>  This Inner Loop Header: Depth=2
	global_load_b64 v[1:2], v0, s[4:5] scope:SCOPE_SYS
	s_wait_loadcnt 0x0
	s_wait_alu 0xfffe
	v_cmp_ne_u64_e32 vcc_lo, s[8:9], v[1:2]
	s_cbranch_vccnz .LBB1_1223
; %bb.1224:                             ;   in Loop: Header=BB1_1 Depth=1
	v_dual_mov_b32 v1, s8 :: v_dual_mov_b32 v2, s9
	s_add_co_i32 s8, s2, 0x264
	s_mov_b32 s9, s3
	global_store_b64 v0, v[1:2], s[6:7] scope:SCOPE_SYS
.LBB1_1225:                             ;   Parent Loop BB1_1 Depth=1
                                        ; =>  This Inner Loop Header: Depth=2
	global_load_b64 v[1:2], v0, s[4:5] scope:SCOPE_SYS
	s_wait_loadcnt 0x0
	s_wait_alu 0xfffe
	v_cmp_ne_u64_e32 vcc_lo, s[8:9], v[1:2]
	s_cbranch_vccnz .LBB1_1225
; %bb.1226:                             ;   in Loop: Header=BB1_1 Depth=1
	v_dual_mov_b32 v1, s8 :: v_dual_mov_b32 v2, s9
	s_add_co_i32 s8, s2, 0x265
	s_mov_b32 s9, s3
	global_store_b64 v0, v[1:2], s[6:7] scope:SCOPE_SYS
.LBB1_1227:                             ;   Parent Loop BB1_1 Depth=1
                                        ; =>  This Inner Loop Header: Depth=2
	global_load_b64 v[1:2], v0, s[4:5] scope:SCOPE_SYS
	s_wait_loadcnt 0x0
	s_wait_alu 0xfffe
	v_cmp_ne_u64_e32 vcc_lo, s[8:9], v[1:2]
	s_cbranch_vccnz .LBB1_1227
; %bb.1228:                             ;   in Loop: Header=BB1_1 Depth=1
	v_dual_mov_b32 v1, s8 :: v_dual_mov_b32 v2, s9
	s_add_co_i32 s8, s2, 0x266
	s_mov_b32 s9, s3
	global_store_b64 v0, v[1:2], s[6:7] scope:SCOPE_SYS
.LBB1_1229:                             ;   Parent Loop BB1_1 Depth=1
                                        ; =>  This Inner Loop Header: Depth=2
	global_load_b64 v[1:2], v0, s[4:5] scope:SCOPE_SYS
	s_wait_loadcnt 0x0
	s_wait_alu 0xfffe
	v_cmp_ne_u64_e32 vcc_lo, s[8:9], v[1:2]
	s_cbranch_vccnz .LBB1_1229
; %bb.1230:                             ;   in Loop: Header=BB1_1 Depth=1
	v_dual_mov_b32 v1, s8 :: v_dual_mov_b32 v2, s9
	s_add_co_i32 s8, s2, 0x267
	s_mov_b32 s9, s3
	global_store_b64 v0, v[1:2], s[6:7] scope:SCOPE_SYS
.LBB1_1231:                             ;   Parent Loop BB1_1 Depth=1
                                        ; =>  This Inner Loop Header: Depth=2
	global_load_b64 v[1:2], v0, s[4:5] scope:SCOPE_SYS
	s_wait_loadcnt 0x0
	s_wait_alu 0xfffe
	v_cmp_ne_u64_e32 vcc_lo, s[8:9], v[1:2]
	s_cbranch_vccnz .LBB1_1231
; %bb.1232:                             ;   in Loop: Header=BB1_1 Depth=1
	v_dual_mov_b32 v1, s8 :: v_dual_mov_b32 v2, s9
	s_add_co_i32 s8, s2, 0x268
	s_mov_b32 s9, s3
	global_store_b64 v0, v[1:2], s[6:7] scope:SCOPE_SYS
.LBB1_1233:                             ;   Parent Loop BB1_1 Depth=1
                                        ; =>  This Inner Loop Header: Depth=2
	global_load_b64 v[1:2], v0, s[4:5] scope:SCOPE_SYS
	s_wait_loadcnt 0x0
	s_wait_alu 0xfffe
	v_cmp_ne_u64_e32 vcc_lo, s[8:9], v[1:2]
	s_cbranch_vccnz .LBB1_1233
; %bb.1234:                             ;   in Loop: Header=BB1_1 Depth=1
	v_dual_mov_b32 v1, s8 :: v_dual_mov_b32 v2, s9
	s_add_co_i32 s8, s2, 0x269
	s_mov_b32 s9, s3
	global_store_b64 v0, v[1:2], s[6:7] scope:SCOPE_SYS
.LBB1_1235:                             ;   Parent Loop BB1_1 Depth=1
                                        ; =>  This Inner Loop Header: Depth=2
	global_load_b64 v[1:2], v0, s[4:5] scope:SCOPE_SYS
	s_wait_loadcnt 0x0
	s_wait_alu 0xfffe
	v_cmp_ne_u64_e32 vcc_lo, s[8:9], v[1:2]
	s_cbranch_vccnz .LBB1_1235
; %bb.1236:                             ;   in Loop: Header=BB1_1 Depth=1
	v_dual_mov_b32 v1, s8 :: v_dual_mov_b32 v2, s9
	s_add_co_i32 s8, s2, 0x26a
	s_mov_b32 s9, s3
	global_store_b64 v0, v[1:2], s[6:7] scope:SCOPE_SYS
.LBB1_1237:                             ;   Parent Loop BB1_1 Depth=1
                                        ; =>  This Inner Loop Header: Depth=2
	global_load_b64 v[1:2], v0, s[4:5] scope:SCOPE_SYS
	s_wait_loadcnt 0x0
	s_wait_alu 0xfffe
	v_cmp_ne_u64_e32 vcc_lo, s[8:9], v[1:2]
	s_cbranch_vccnz .LBB1_1237
; %bb.1238:                             ;   in Loop: Header=BB1_1 Depth=1
	v_dual_mov_b32 v1, s8 :: v_dual_mov_b32 v2, s9
	s_add_co_i32 s8, s2, 0x26b
	s_mov_b32 s9, s3
	global_store_b64 v0, v[1:2], s[6:7] scope:SCOPE_SYS
.LBB1_1239:                             ;   Parent Loop BB1_1 Depth=1
                                        ; =>  This Inner Loop Header: Depth=2
	global_load_b64 v[1:2], v0, s[4:5] scope:SCOPE_SYS
	s_wait_loadcnt 0x0
	s_wait_alu 0xfffe
	v_cmp_ne_u64_e32 vcc_lo, s[8:9], v[1:2]
	s_cbranch_vccnz .LBB1_1239
; %bb.1240:                             ;   in Loop: Header=BB1_1 Depth=1
	v_dual_mov_b32 v1, s8 :: v_dual_mov_b32 v2, s9
	s_add_co_i32 s8, s2, 0x26c
	s_mov_b32 s9, s3
	global_store_b64 v0, v[1:2], s[6:7] scope:SCOPE_SYS
.LBB1_1241:                             ;   Parent Loop BB1_1 Depth=1
                                        ; =>  This Inner Loop Header: Depth=2
	global_load_b64 v[1:2], v0, s[4:5] scope:SCOPE_SYS
	s_wait_loadcnt 0x0
	s_wait_alu 0xfffe
	v_cmp_ne_u64_e32 vcc_lo, s[8:9], v[1:2]
	s_cbranch_vccnz .LBB1_1241
; %bb.1242:                             ;   in Loop: Header=BB1_1 Depth=1
	v_dual_mov_b32 v1, s8 :: v_dual_mov_b32 v2, s9
	s_add_co_i32 s8, s2, 0x26d
	s_mov_b32 s9, s3
	global_store_b64 v0, v[1:2], s[6:7] scope:SCOPE_SYS
.LBB1_1243:                             ;   Parent Loop BB1_1 Depth=1
                                        ; =>  This Inner Loop Header: Depth=2
	global_load_b64 v[1:2], v0, s[4:5] scope:SCOPE_SYS
	s_wait_loadcnt 0x0
	s_wait_alu 0xfffe
	v_cmp_ne_u64_e32 vcc_lo, s[8:9], v[1:2]
	s_cbranch_vccnz .LBB1_1243
; %bb.1244:                             ;   in Loop: Header=BB1_1 Depth=1
	v_dual_mov_b32 v1, s8 :: v_dual_mov_b32 v2, s9
	s_add_co_i32 s8, s2, 0x26e
	s_mov_b32 s9, s3
	global_store_b64 v0, v[1:2], s[6:7] scope:SCOPE_SYS
.LBB1_1245:                             ;   Parent Loop BB1_1 Depth=1
                                        ; =>  This Inner Loop Header: Depth=2
	global_load_b64 v[1:2], v0, s[4:5] scope:SCOPE_SYS
	s_wait_loadcnt 0x0
	s_wait_alu 0xfffe
	v_cmp_ne_u64_e32 vcc_lo, s[8:9], v[1:2]
	s_cbranch_vccnz .LBB1_1245
; %bb.1246:                             ;   in Loop: Header=BB1_1 Depth=1
	v_dual_mov_b32 v1, s8 :: v_dual_mov_b32 v2, s9
	s_add_co_i32 s8, s2, 0x26f
	s_mov_b32 s9, s3
	global_store_b64 v0, v[1:2], s[6:7] scope:SCOPE_SYS
.LBB1_1247:                             ;   Parent Loop BB1_1 Depth=1
                                        ; =>  This Inner Loop Header: Depth=2
	global_load_b64 v[1:2], v0, s[4:5] scope:SCOPE_SYS
	s_wait_loadcnt 0x0
	s_wait_alu 0xfffe
	v_cmp_ne_u64_e32 vcc_lo, s[8:9], v[1:2]
	s_cbranch_vccnz .LBB1_1247
; %bb.1248:                             ;   in Loop: Header=BB1_1 Depth=1
	v_dual_mov_b32 v1, s8 :: v_dual_mov_b32 v2, s9
	s_add_co_i32 s8, s2, 0x270
	s_mov_b32 s9, s3
	global_store_b64 v0, v[1:2], s[6:7] scope:SCOPE_SYS
.LBB1_1249:                             ;   Parent Loop BB1_1 Depth=1
                                        ; =>  This Inner Loop Header: Depth=2
	global_load_b64 v[1:2], v0, s[4:5] scope:SCOPE_SYS
	s_wait_loadcnt 0x0
	s_wait_alu 0xfffe
	v_cmp_ne_u64_e32 vcc_lo, s[8:9], v[1:2]
	s_cbranch_vccnz .LBB1_1249
; %bb.1250:                             ;   in Loop: Header=BB1_1 Depth=1
	v_dual_mov_b32 v1, s8 :: v_dual_mov_b32 v2, s9
	s_add_co_i32 s8, s2, 0x271
	s_mov_b32 s9, s3
	global_store_b64 v0, v[1:2], s[6:7] scope:SCOPE_SYS
.LBB1_1251:                             ;   Parent Loop BB1_1 Depth=1
                                        ; =>  This Inner Loop Header: Depth=2
	global_load_b64 v[1:2], v0, s[4:5] scope:SCOPE_SYS
	s_wait_loadcnt 0x0
	s_wait_alu 0xfffe
	v_cmp_ne_u64_e32 vcc_lo, s[8:9], v[1:2]
	s_cbranch_vccnz .LBB1_1251
; %bb.1252:                             ;   in Loop: Header=BB1_1 Depth=1
	v_dual_mov_b32 v1, s8 :: v_dual_mov_b32 v2, s9
	s_add_co_i32 s8, s2, 0x272
	s_mov_b32 s9, s3
	global_store_b64 v0, v[1:2], s[6:7] scope:SCOPE_SYS
.LBB1_1253:                             ;   Parent Loop BB1_1 Depth=1
                                        ; =>  This Inner Loop Header: Depth=2
	global_load_b64 v[1:2], v0, s[4:5] scope:SCOPE_SYS
	s_wait_loadcnt 0x0
	s_wait_alu 0xfffe
	v_cmp_ne_u64_e32 vcc_lo, s[8:9], v[1:2]
	s_cbranch_vccnz .LBB1_1253
; %bb.1254:                             ;   in Loop: Header=BB1_1 Depth=1
	v_dual_mov_b32 v1, s8 :: v_dual_mov_b32 v2, s9
	s_add_co_i32 s8, s2, 0x273
	s_mov_b32 s9, s3
	global_store_b64 v0, v[1:2], s[6:7] scope:SCOPE_SYS
.LBB1_1255:                             ;   Parent Loop BB1_1 Depth=1
                                        ; =>  This Inner Loop Header: Depth=2
	global_load_b64 v[1:2], v0, s[4:5] scope:SCOPE_SYS
	s_wait_loadcnt 0x0
	s_wait_alu 0xfffe
	v_cmp_ne_u64_e32 vcc_lo, s[8:9], v[1:2]
	s_cbranch_vccnz .LBB1_1255
; %bb.1256:                             ;   in Loop: Header=BB1_1 Depth=1
	v_dual_mov_b32 v1, s8 :: v_dual_mov_b32 v2, s9
	s_add_co_i32 s8, s2, 0x274
	s_mov_b32 s9, s3
	global_store_b64 v0, v[1:2], s[6:7] scope:SCOPE_SYS
.LBB1_1257:                             ;   Parent Loop BB1_1 Depth=1
                                        ; =>  This Inner Loop Header: Depth=2
	global_load_b64 v[1:2], v0, s[4:5] scope:SCOPE_SYS
	s_wait_loadcnt 0x0
	s_wait_alu 0xfffe
	v_cmp_ne_u64_e32 vcc_lo, s[8:9], v[1:2]
	s_cbranch_vccnz .LBB1_1257
; %bb.1258:                             ;   in Loop: Header=BB1_1 Depth=1
	v_dual_mov_b32 v1, s8 :: v_dual_mov_b32 v2, s9
	s_add_co_i32 s8, s2, 0x275
	s_mov_b32 s9, s3
	global_store_b64 v0, v[1:2], s[6:7] scope:SCOPE_SYS
.LBB1_1259:                             ;   Parent Loop BB1_1 Depth=1
                                        ; =>  This Inner Loop Header: Depth=2
	global_load_b64 v[1:2], v0, s[4:5] scope:SCOPE_SYS
	s_wait_loadcnt 0x0
	s_wait_alu 0xfffe
	v_cmp_ne_u64_e32 vcc_lo, s[8:9], v[1:2]
	s_cbranch_vccnz .LBB1_1259
; %bb.1260:                             ;   in Loop: Header=BB1_1 Depth=1
	v_dual_mov_b32 v1, s8 :: v_dual_mov_b32 v2, s9
	s_add_co_i32 s8, s2, 0x276
	s_mov_b32 s9, s3
	global_store_b64 v0, v[1:2], s[6:7] scope:SCOPE_SYS
.LBB1_1261:                             ;   Parent Loop BB1_1 Depth=1
                                        ; =>  This Inner Loop Header: Depth=2
	global_load_b64 v[1:2], v0, s[4:5] scope:SCOPE_SYS
	s_wait_loadcnt 0x0
	s_wait_alu 0xfffe
	v_cmp_ne_u64_e32 vcc_lo, s[8:9], v[1:2]
	s_cbranch_vccnz .LBB1_1261
; %bb.1262:                             ;   in Loop: Header=BB1_1 Depth=1
	v_dual_mov_b32 v1, s8 :: v_dual_mov_b32 v2, s9
	s_add_co_i32 s8, s2, 0x277
	s_mov_b32 s9, s3
	global_store_b64 v0, v[1:2], s[6:7] scope:SCOPE_SYS
.LBB1_1263:                             ;   Parent Loop BB1_1 Depth=1
                                        ; =>  This Inner Loop Header: Depth=2
	global_load_b64 v[1:2], v0, s[4:5] scope:SCOPE_SYS
	s_wait_loadcnt 0x0
	s_wait_alu 0xfffe
	v_cmp_ne_u64_e32 vcc_lo, s[8:9], v[1:2]
	s_cbranch_vccnz .LBB1_1263
; %bb.1264:                             ;   in Loop: Header=BB1_1 Depth=1
	v_dual_mov_b32 v1, s8 :: v_dual_mov_b32 v2, s9
	s_add_co_i32 s8, s2, 0x278
	s_mov_b32 s9, s3
	global_store_b64 v0, v[1:2], s[6:7] scope:SCOPE_SYS
.LBB1_1265:                             ;   Parent Loop BB1_1 Depth=1
                                        ; =>  This Inner Loop Header: Depth=2
	global_load_b64 v[1:2], v0, s[4:5] scope:SCOPE_SYS
	s_wait_loadcnt 0x0
	s_wait_alu 0xfffe
	v_cmp_ne_u64_e32 vcc_lo, s[8:9], v[1:2]
	s_cbranch_vccnz .LBB1_1265
; %bb.1266:                             ;   in Loop: Header=BB1_1 Depth=1
	v_dual_mov_b32 v1, s8 :: v_dual_mov_b32 v2, s9
	s_add_co_i32 s8, s2, 0x279
	s_mov_b32 s9, s3
	global_store_b64 v0, v[1:2], s[6:7] scope:SCOPE_SYS
.LBB1_1267:                             ;   Parent Loop BB1_1 Depth=1
                                        ; =>  This Inner Loop Header: Depth=2
	global_load_b64 v[1:2], v0, s[4:5] scope:SCOPE_SYS
	s_wait_loadcnt 0x0
	s_wait_alu 0xfffe
	v_cmp_ne_u64_e32 vcc_lo, s[8:9], v[1:2]
	s_cbranch_vccnz .LBB1_1267
; %bb.1268:                             ;   in Loop: Header=BB1_1 Depth=1
	v_dual_mov_b32 v1, s8 :: v_dual_mov_b32 v2, s9
	s_add_co_i32 s8, s2, 0x27a
	s_mov_b32 s9, s3
	global_store_b64 v0, v[1:2], s[6:7] scope:SCOPE_SYS
.LBB1_1269:                             ;   Parent Loop BB1_1 Depth=1
                                        ; =>  This Inner Loop Header: Depth=2
	global_load_b64 v[1:2], v0, s[4:5] scope:SCOPE_SYS
	s_wait_loadcnt 0x0
	s_wait_alu 0xfffe
	v_cmp_ne_u64_e32 vcc_lo, s[8:9], v[1:2]
	s_cbranch_vccnz .LBB1_1269
; %bb.1270:                             ;   in Loop: Header=BB1_1 Depth=1
	v_dual_mov_b32 v1, s8 :: v_dual_mov_b32 v2, s9
	s_add_co_i32 s8, s2, 0x27b
	s_mov_b32 s9, s3
	global_store_b64 v0, v[1:2], s[6:7] scope:SCOPE_SYS
.LBB1_1271:                             ;   Parent Loop BB1_1 Depth=1
                                        ; =>  This Inner Loop Header: Depth=2
	global_load_b64 v[1:2], v0, s[4:5] scope:SCOPE_SYS
	s_wait_loadcnt 0x0
	s_wait_alu 0xfffe
	v_cmp_ne_u64_e32 vcc_lo, s[8:9], v[1:2]
	s_cbranch_vccnz .LBB1_1271
; %bb.1272:                             ;   in Loop: Header=BB1_1 Depth=1
	v_dual_mov_b32 v1, s8 :: v_dual_mov_b32 v2, s9
	s_add_co_i32 s8, s2, 0x27c
	s_mov_b32 s9, s3
	global_store_b64 v0, v[1:2], s[6:7] scope:SCOPE_SYS
.LBB1_1273:                             ;   Parent Loop BB1_1 Depth=1
                                        ; =>  This Inner Loop Header: Depth=2
	global_load_b64 v[1:2], v0, s[4:5] scope:SCOPE_SYS
	s_wait_loadcnt 0x0
	s_wait_alu 0xfffe
	v_cmp_ne_u64_e32 vcc_lo, s[8:9], v[1:2]
	s_cbranch_vccnz .LBB1_1273
; %bb.1274:                             ;   in Loop: Header=BB1_1 Depth=1
	v_dual_mov_b32 v1, s8 :: v_dual_mov_b32 v2, s9
	s_add_co_i32 s8, s2, 0x27d
	s_mov_b32 s9, s3
	global_store_b64 v0, v[1:2], s[6:7] scope:SCOPE_SYS
.LBB1_1275:                             ;   Parent Loop BB1_1 Depth=1
                                        ; =>  This Inner Loop Header: Depth=2
	global_load_b64 v[1:2], v0, s[4:5] scope:SCOPE_SYS
	s_wait_loadcnt 0x0
	s_wait_alu 0xfffe
	v_cmp_ne_u64_e32 vcc_lo, s[8:9], v[1:2]
	s_cbranch_vccnz .LBB1_1275
; %bb.1276:                             ;   in Loop: Header=BB1_1 Depth=1
	v_dual_mov_b32 v1, s8 :: v_dual_mov_b32 v2, s9
	s_add_co_i32 s8, s2, 0x27e
	s_mov_b32 s9, s3
	global_store_b64 v0, v[1:2], s[6:7] scope:SCOPE_SYS
.LBB1_1277:                             ;   Parent Loop BB1_1 Depth=1
                                        ; =>  This Inner Loop Header: Depth=2
	global_load_b64 v[1:2], v0, s[4:5] scope:SCOPE_SYS
	s_wait_loadcnt 0x0
	s_wait_alu 0xfffe
	v_cmp_ne_u64_e32 vcc_lo, s[8:9], v[1:2]
	s_cbranch_vccnz .LBB1_1277
; %bb.1278:                             ;   in Loop: Header=BB1_1 Depth=1
	v_dual_mov_b32 v1, s8 :: v_dual_mov_b32 v2, s9
	s_add_co_i32 s8, s2, 0x27f
	s_mov_b32 s9, s3
	global_store_b64 v0, v[1:2], s[6:7] scope:SCOPE_SYS
.LBB1_1279:                             ;   Parent Loop BB1_1 Depth=1
                                        ; =>  This Inner Loop Header: Depth=2
	global_load_b64 v[1:2], v0, s[4:5] scope:SCOPE_SYS
	s_wait_loadcnt 0x0
	s_wait_alu 0xfffe
	v_cmp_ne_u64_e32 vcc_lo, s[8:9], v[1:2]
	s_cbranch_vccnz .LBB1_1279
; %bb.1280:                             ;   in Loop: Header=BB1_1 Depth=1
	v_dual_mov_b32 v1, s8 :: v_dual_mov_b32 v2, s9
	s_add_co_i32 s8, s2, 0x280
	s_mov_b32 s9, s3
	global_store_b64 v0, v[1:2], s[6:7] scope:SCOPE_SYS
.LBB1_1281:                             ;   Parent Loop BB1_1 Depth=1
                                        ; =>  This Inner Loop Header: Depth=2
	global_load_b64 v[1:2], v0, s[4:5] scope:SCOPE_SYS
	s_wait_loadcnt 0x0
	s_wait_alu 0xfffe
	v_cmp_ne_u64_e32 vcc_lo, s[8:9], v[1:2]
	s_cbranch_vccnz .LBB1_1281
; %bb.1282:                             ;   in Loop: Header=BB1_1 Depth=1
	v_dual_mov_b32 v1, s8 :: v_dual_mov_b32 v2, s9
	s_add_co_i32 s8, s2, 0x281
	s_mov_b32 s9, s3
	global_store_b64 v0, v[1:2], s[6:7] scope:SCOPE_SYS
.LBB1_1283:                             ;   Parent Loop BB1_1 Depth=1
                                        ; =>  This Inner Loop Header: Depth=2
	global_load_b64 v[1:2], v0, s[4:5] scope:SCOPE_SYS
	s_wait_loadcnt 0x0
	s_wait_alu 0xfffe
	v_cmp_ne_u64_e32 vcc_lo, s[8:9], v[1:2]
	s_cbranch_vccnz .LBB1_1283
; %bb.1284:                             ;   in Loop: Header=BB1_1 Depth=1
	v_dual_mov_b32 v1, s8 :: v_dual_mov_b32 v2, s9
	s_add_co_i32 s8, s2, 0x282
	s_mov_b32 s9, s3
	global_store_b64 v0, v[1:2], s[6:7] scope:SCOPE_SYS
.LBB1_1285:                             ;   Parent Loop BB1_1 Depth=1
                                        ; =>  This Inner Loop Header: Depth=2
	global_load_b64 v[1:2], v0, s[4:5] scope:SCOPE_SYS
	s_wait_loadcnt 0x0
	s_wait_alu 0xfffe
	v_cmp_ne_u64_e32 vcc_lo, s[8:9], v[1:2]
	s_cbranch_vccnz .LBB1_1285
; %bb.1286:                             ;   in Loop: Header=BB1_1 Depth=1
	v_dual_mov_b32 v1, s8 :: v_dual_mov_b32 v2, s9
	s_add_co_i32 s8, s2, 0x283
	s_mov_b32 s9, s3
	global_store_b64 v0, v[1:2], s[6:7] scope:SCOPE_SYS
.LBB1_1287:                             ;   Parent Loop BB1_1 Depth=1
                                        ; =>  This Inner Loop Header: Depth=2
	global_load_b64 v[1:2], v0, s[4:5] scope:SCOPE_SYS
	s_wait_loadcnt 0x0
	s_wait_alu 0xfffe
	v_cmp_ne_u64_e32 vcc_lo, s[8:9], v[1:2]
	s_cbranch_vccnz .LBB1_1287
; %bb.1288:                             ;   in Loop: Header=BB1_1 Depth=1
	v_dual_mov_b32 v1, s8 :: v_dual_mov_b32 v2, s9
	s_add_co_i32 s8, s2, 0x284
	s_mov_b32 s9, s3
	global_store_b64 v0, v[1:2], s[6:7] scope:SCOPE_SYS
.LBB1_1289:                             ;   Parent Loop BB1_1 Depth=1
                                        ; =>  This Inner Loop Header: Depth=2
	global_load_b64 v[1:2], v0, s[4:5] scope:SCOPE_SYS
	s_wait_loadcnt 0x0
	s_wait_alu 0xfffe
	v_cmp_ne_u64_e32 vcc_lo, s[8:9], v[1:2]
	s_cbranch_vccnz .LBB1_1289
; %bb.1290:                             ;   in Loop: Header=BB1_1 Depth=1
	v_dual_mov_b32 v1, s8 :: v_dual_mov_b32 v2, s9
	s_add_co_i32 s8, s2, 0x285
	s_mov_b32 s9, s3
	global_store_b64 v0, v[1:2], s[6:7] scope:SCOPE_SYS
.LBB1_1291:                             ;   Parent Loop BB1_1 Depth=1
                                        ; =>  This Inner Loop Header: Depth=2
	global_load_b64 v[1:2], v0, s[4:5] scope:SCOPE_SYS
	s_wait_loadcnt 0x0
	s_wait_alu 0xfffe
	v_cmp_ne_u64_e32 vcc_lo, s[8:9], v[1:2]
	s_cbranch_vccnz .LBB1_1291
; %bb.1292:                             ;   in Loop: Header=BB1_1 Depth=1
	v_dual_mov_b32 v1, s8 :: v_dual_mov_b32 v2, s9
	s_add_co_i32 s8, s2, 0x286
	s_mov_b32 s9, s3
	global_store_b64 v0, v[1:2], s[6:7] scope:SCOPE_SYS
.LBB1_1293:                             ;   Parent Loop BB1_1 Depth=1
                                        ; =>  This Inner Loop Header: Depth=2
	global_load_b64 v[1:2], v0, s[4:5] scope:SCOPE_SYS
	s_wait_loadcnt 0x0
	s_wait_alu 0xfffe
	v_cmp_ne_u64_e32 vcc_lo, s[8:9], v[1:2]
	s_cbranch_vccnz .LBB1_1293
; %bb.1294:                             ;   in Loop: Header=BB1_1 Depth=1
	v_dual_mov_b32 v1, s8 :: v_dual_mov_b32 v2, s9
	s_add_co_i32 s8, s2, 0x287
	s_mov_b32 s9, s3
	global_store_b64 v0, v[1:2], s[6:7] scope:SCOPE_SYS
.LBB1_1295:                             ;   Parent Loop BB1_1 Depth=1
                                        ; =>  This Inner Loop Header: Depth=2
	global_load_b64 v[1:2], v0, s[4:5] scope:SCOPE_SYS
	s_wait_loadcnt 0x0
	s_wait_alu 0xfffe
	v_cmp_ne_u64_e32 vcc_lo, s[8:9], v[1:2]
	s_cbranch_vccnz .LBB1_1295
; %bb.1296:                             ;   in Loop: Header=BB1_1 Depth=1
	v_dual_mov_b32 v1, s8 :: v_dual_mov_b32 v2, s9
	s_add_co_i32 s8, s2, 0x288
	s_mov_b32 s9, s3
	global_store_b64 v0, v[1:2], s[6:7] scope:SCOPE_SYS
.LBB1_1297:                             ;   Parent Loop BB1_1 Depth=1
                                        ; =>  This Inner Loop Header: Depth=2
	global_load_b64 v[1:2], v0, s[4:5] scope:SCOPE_SYS
	s_wait_loadcnt 0x0
	s_wait_alu 0xfffe
	v_cmp_ne_u64_e32 vcc_lo, s[8:9], v[1:2]
	s_cbranch_vccnz .LBB1_1297
; %bb.1298:                             ;   in Loop: Header=BB1_1 Depth=1
	v_dual_mov_b32 v1, s8 :: v_dual_mov_b32 v2, s9
	s_add_co_i32 s8, s2, 0x289
	s_mov_b32 s9, s3
	global_store_b64 v0, v[1:2], s[6:7] scope:SCOPE_SYS
.LBB1_1299:                             ;   Parent Loop BB1_1 Depth=1
                                        ; =>  This Inner Loop Header: Depth=2
	global_load_b64 v[1:2], v0, s[4:5] scope:SCOPE_SYS
	s_wait_loadcnt 0x0
	s_wait_alu 0xfffe
	v_cmp_ne_u64_e32 vcc_lo, s[8:9], v[1:2]
	s_cbranch_vccnz .LBB1_1299
; %bb.1300:                             ;   in Loop: Header=BB1_1 Depth=1
	v_dual_mov_b32 v1, s8 :: v_dual_mov_b32 v2, s9
	s_add_co_i32 s8, s2, 0x28a
	s_mov_b32 s9, s3
	global_store_b64 v0, v[1:2], s[6:7] scope:SCOPE_SYS
.LBB1_1301:                             ;   Parent Loop BB1_1 Depth=1
                                        ; =>  This Inner Loop Header: Depth=2
	global_load_b64 v[1:2], v0, s[4:5] scope:SCOPE_SYS
	s_wait_loadcnt 0x0
	s_wait_alu 0xfffe
	v_cmp_ne_u64_e32 vcc_lo, s[8:9], v[1:2]
	s_cbranch_vccnz .LBB1_1301
; %bb.1302:                             ;   in Loop: Header=BB1_1 Depth=1
	v_dual_mov_b32 v1, s8 :: v_dual_mov_b32 v2, s9
	s_add_co_i32 s8, s2, 0x28b
	s_mov_b32 s9, s3
	global_store_b64 v0, v[1:2], s[6:7] scope:SCOPE_SYS
.LBB1_1303:                             ;   Parent Loop BB1_1 Depth=1
                                        ; =>  This Inner Loop Header: Depth=2
	global_load_b64 v[1:2], v0, s[4:5] scope:SCOPE_SYS
	s_wait_loadcnt 0x0
	s_wait_alu 0xfffe
	v_cmp_ne_u64_e32 vcc_lo, s[8:9], v[1:2]
	s_cbranch_vccnz .LBB1_1303
; %bb.1304:                             ;   in Loop: Header=BB1_1 Depth=1
	v_dual_mov_b32 v1, s8 :: v_dual_mov_b32 v2, s9
	s_add_co_i32 s8, s2, 0x28c
	s_mov_b32 s9, s3
	global_store_b64 v0, v[1:2], s[6:7] scope:SCOPE_SYS
.LBB1_1305:                             ;   Parent Loop BB1_1 Depth=1
                                        ; =>  This Inner Loop Header: Depth=2
	global_load_b64 v[1:2], v0, s[4:5] scope:SCOPE_SYS
	s_wait_loadcnt 0x0
	s_wait_alu 0xfffe
	v_cmp_ne_u64_e32 vcc_lo, s[8:9], v[1:2]
	s_cbranch_vccnz .LBB1_1305
; %bb.1306:                             ;   in Loop: Header=BB1_1 Depth=1
	v_dual_mov_b32 v1, s8 :: v_dual_mov_b32 v2, s9
	s_add_co_i32 s8, s2, 0x28d
	s_mov_b32 s9, s3
	global_store_b64 v0, v[1:2], s[6:7] scope:SCOPE_SYS
.LBB1_1307:                             ;   Parent Loop BB1_1 Depth=1
                                        ; =>  This Inner Loop Header: Depth=2
	global_load_b64 v[1:2], v0, s[4:5] scope:SCOPE_SYS
	s_wait_loadcnt 0x0
	s_wait_alu 0xfffe
	v_cmp_ne_u64_e32 vcc_lo, s[8:9], v[1:2]
	s_cbranch_vccnz .LBB1_1307
; %bb.1308:                             ;   in Loop: Header=BB1_1 Depth=1
	v_dual_mov_b32 v1, s8 :: v_dual_mov_b32 v2, s9
	s_add_co_i32 s8, s2, 0x28e
	s_mov_b32 s9, s3
	global_store_b64 v0, v[1:2], s[6:7] scope:SCOPE_SYS
.LBB1_1309:                             ;   Parent Loop BB1_1 Depth=1
                                        ; =>  This Inner Loop Header: Depth=2
	global_load_b64 v[1:2], v0, s[4:5] scope:SCOPE_SYS
	s_wait_loadcnt 0x0
	s_wait_alu 0xfffe
	v_cmp_ne_u64_e32 vcc_lo, s[8:9], v[1:2]
	s_cbranch_vccnz .LBB1_1309
; %bb.1310:                             ;   in Loop: Header=BB1_1 Depth=1
	v_dual_mov_b32 v1, s8 :: v_dual_mov_b32 v2, s9
	s_add_co_i32 s8, s2, 0x28f
	s_mov_b32 s9, s3
	global_store_b64 v0, v[1:2], s[6:7] scope:SCOPE_SYS
.LBB1_1311:                             ;   Parent Loop BB1_1 Depth=1
                                        ; =>  This Inner Loop Header: Depth=2
	global_load_b64 v[1:2], v0, s[4:5] scope:SCOPE_SYS
	s_wait_loadcnt 0x0
	s_wait_alu 0xfffe
	v_cmp_ne_u64_e32 vcc_lo, s[8:9], v[1:2]
	s_cbranch_vccnz .LBB1_1311
; %bb.1312:                             ;   in Loop: Header=BB1_1 Depth=1
	v_dual_mov_b32 v1, s8 :: v_dual_mov_b32 v2, s9
	s_add_co_i32 s8, s2, 0x290
	s_mov_b32 s9, s3
	global_store_b64 v0, v[1:2], s[6:7] scope:SCOPE_SYS
.LBB1_1313:                             ;   Parent Loop BB1_1 Depth=1
                                        ; =>  This Inner Loop Header: Depth=2
	global_load_b64 v[1:2], v0, s[4:5] scope:SCOPE_SYS
	s_wait_loadcnt 0x0
	s_wait_alu 0xfffe
	v_cmp_ne_u64_e32 vcc_lo, s[8:9], v[1:2]
	s_cbranch_vccnz .LBB1_1313
; %bb.1314:                             ;   in Loop: Header=BB1_1 Depth=1
	v_dual_mov_b32 v1, s8 :: v_dual_mov_b32 v2, s9
	s_add_co_i32 s8, s2, 0x291
	s_mov_b32 s9, s3
	global_store_b64 v0, v[1:2], s[6:7] scope:SCOPE_SYS
.LBB1_1315:                             ;   Parent Loop BB1_1 Depth=1
                                        ; =>  This Inner Loop Header: Depth=2
	global_load_b64 v[1:2], v0, s[4:5] scope:SCOPE_SYS
	s_wait_loadcnt 0x0
	s_wait_alu 0xfffe
	v_cmp_ne_u64_e32 vcc_lo, s[8:9], v[1:2]
	s_cbranch_vccnz .LBB1_1315
; %bb.1316:                             ;   in Loop: Header=BB1_1 Depth=1
	v_dual_mov_b32 v1, s8 :: v_dual_mov_b32 v2, s9
	s_add_co_i32 s8, s2, 0x292
	s_mov_b32 s9, s3
	global_store_b64 v0, v[1:2], s[6:7] scope:SCOPE_SYS
.LBB1_1317:                             ;   Parent Loop BB1_1 Depth=1
                                        ; =>  This Inner Loop Header: Depth=2
	global_load_b64 v[1:2], v0, s[4:5] scope:SCOPE_SYS
	s_wait_loadcnt 0x0
	s_wait_alu 0xfffe
	v_cmp_ne_u64_e32 vcc_lo, s[8:9], v[1:2]
	s_cbranch_vccnz .LBB1_1317
; %bb.1318:                             ;   in Loop: Header=BB1_1 Depth=1
	v_dual_mov_b32 v1, s8 :: v_dual_mov_b32 v2, s9
	s_add_co_i32 s8, s2, 0x293
	s_mov_b32 s9, s3
	global_store_b64 v0, v[1:2], s[6:7] scope:SCOPE_SYS
.LBB1_1319:                             ;   Parent Loop BB1_1 Depth=1
                                        ; =>  This Inner Loop Header: Depth=2
	global_load_b64 v[1:2], v0, s[4:5] scope:SCOPE_SYS
	s_wait_loadcnt 0x0
	s_wait_alu 0xfffe
	v_cmp_ne_u64_e32 vcc_lo, s[8:9], v[1:2]
	s_cbranch_vccnz .LBB1_1319
; %bb.1320:                             ;   in Loop: Header=BB1_1 Depth=1
	v_dual_mov_b32 v1, s8 :: v_dual_mov_b32 v2, s9
	s_add_co_i32 s8, s2, 0x294
	s_mov_b32 s9, s3
	global_store_b64 v0, v[1:2], s[6:7] scope:SCOPE_SYS
.LBB1_1321:                             ;   Parent Loop BB1_1 Depth=1
                                        ; =>  This Inner Loop Header: Depth=2
	global_load_b64 v[1:2], v0, s[4:5] scope:SCOPE_SYS
	s_wait_loadcnt 0x0
	s_wait_alu 0xfffe
	v_cmp_ne_u64_e32 vcc_lo, s[8:9], v[1:2]
	s_cbranch_vccnz .LBB1_1321
; %bb.1322:                             ;   in Loop: Header=BB1_1 Depth=1
	v_dual_mov_b32 v1, s8 :: v_dual_mov_b32 v2, s9
	s_add_co_i32 s8, s2, 0x295
	s_mov_b32 s9, s3
	global_store_b64 v0, v[1:2], s[6:7] scope:SCOPE_SYS
.LBB1_1323:                             ;   Parent Loop BB1_1 Depth=1
                                        ; =>  This Inner Loop Header: Depth=2
	global_load_b64 v[1:2], v0, s[4:5] scope:SCOPE_SYS
	s_wait_loadcnt 0x0
	s_wait_alu 0xfffe
	v_cmp_ne_u64_e32 vcc_lo, s[8:9], v[1:2]
	s_cbranch_vccnz .LBB1_1323
; %bb.1324:                             ;   in Loop: Header=BB1_1 Depth=1
	v_dual_mov_b32 v1, s8 :: v_dual_mov_b32 v2, s9
	s_add_co_i32 s8, s2, 0x296
	s_mov_b32 s9, s3
	global_store_b64 v0, v[1:2], s[6:7] scope:SCOPE_SYS
.LBB1_1325:                             ;   Parent Loop BB1_1 Depth=1
                                        ; =>  This Inner Loop Header: Depth=2
	global_load_b64 v[1:2], v0, s[4:5] scope:SCOPE_SYS
	s_wait_loadcnt 0x0
	s_wait_alu 0xfffe
	v_cmp_ne_u64_e32 vcc_lo, s[8:9], v[1:2]
	s_cbranch_vccnz .LBB1_1325
; %bb.1326:                             ;   in Loop: Header=BB1_1 Depth=1
	v_dual_mov_b32 v1, s8 :: v_dual_mov_b32 v2, s9
	s_add_co_i32 s8, s2, 0x297
	s_mov_b32 s9, s3
	global_store_b64 v0, v[1:2], s[6:7] scope:SCOPE_SYS
.LBB1_1327:                             ;   Parent Loop BB1_1 Depth=1
                                        ; =>  This Inner Loop Header: Depth=2
	global_load_b64 v[1:2], v0, s[4:5] scope:SCOPE_SYS
	s_wait_loadcnt 0x0
	s_wait_alu 0xfffe
	v_cmp_ne_u64_e32 vcc_lo, s[8:9], v[1:2]
	s_cbranch_vccnz .LBB1_1327
; %bb.1328:                             ;   in Loop: Header=BB1_1 Depth=1
	v_dual_mov_b32 v1, s8 :: v_dual_mov_b32 v2, s9
	s_add_co_i32 s8, s2, 0x298
	s_mov_b32 s9, s3
	global_store_b64 v0, v[1:2], s[6:7] scope:SCOPE_SYS
.LBB1_1329:                             ;   Parent Loop BB1_1 Depth=1
                                        ; =>  This Inner Loop Header: Depth=2
	global_load_b64 v[1:2], v0, s[4:5] scope:SCOPE_SYS
	s_wait_loadcnt 0x0
	s_wait_alu 0xfffe
	v_cmp_ne_u64_e32 vcc_lo, s[8:9], v[1:2]
	s_cbranch_vccnz .LBB1_1329
; %bb.1330:                             ;   in Loop: Header=BB1_1 Depth=1
	v_dual_mov_b32 v1, s8 :: v_dual_mov_b32 v2, s9
	s_add_co_i32 s8, s2, 0x299
	s_mov_b32 s9, s3
	global_store_b64 v0, v[1:2], s[6:7] scope:SCOPE_SYS
.LBB1_1331:                             ;   Parent Loop BB1_1 Depth=1
                                        ; =>  This Inner Loop Header: Depth=2
	global_load_b64 v[1:2], v0, s[4:5] scope:SCOPE_SYS
	s_wait_loadcnt 0x0
	s_wait_alu 0xfffe
	v_cmp_ne_u64_e32 vcc_lo, s[8:9], v[1:2]
	s_cbranch_vccnz .LBB1_1331
; %bb.1332:                             ;   in Loop: Header=BB1_1 Depth=1
	v_dual_mov_b32 v1, s8 :: v_dual_mov_b32 v2, s9
	s_add_co_i32 s8, s2, 0x29a
	s_mov_b32 s9, s3
	global_store_b64 v0, v[1:2], s[6:7] scope:SCOPE_SYS
.LBB1_1333:                             ;   Parent Loop BB1_1 Depth=1
                                        ; =>  This Inner Loop Header: Depth=2
	global_load_b64 v[1:2], v0, s[4:5] scope:SCOPE_SYS
	s_wait_loadcnt 0x0
	s_wait_alu 0xfffe
	v_cmp_ne_u64_e32 vcc_lo, s[8:9], v[1:2]
	s_cbranch_vccnz .LBB1_1333
; %bb.1334:                             ;   in Loop: Header=BB1_1 Depth=1
	v_dual_mov_b32 v1, s8 :: v_dual_mov_b32 v2, s9
	s_add_co_i32 s8, s2, 0x29b
	s_mov_b32 s9, s3
	global_store_b64 v0, v[1:2], s[6:7] scope:SCOPE_SYS
.LBB1_1335:                             ;   Parent Loop BB1_1 Depth=1
                                        ; =>  This Inner Loop Header: Depth=2
	global_load_b64 v[1:2], v0, s[4:5] scope:SCOPE_SYS
	s_wait_loadcnt 0x0
	s_wait_alu 0xfffe
	v_cmp_ne_u64_e32 vcc_lo, s[8:9], v[1:2]
	s_cbranch_vccnz .LBB1_1335
; %bb.1336:                             ;   in Loop: Header=BB1_1 Depth=1
	v_dual_mov_b32 v1, s8 :: v_dual_mov_b32 v2, s9
	s_add_co_i32 s8, s2, 0x29c
	s_mov_b32 s9, s3
	global_store_b64 v0, v[1:2], s[6:7] scope:SCOPE_SYS
.LBB1_1337:                             ;   Parent Loop BB1_1 Depth=1
                                        ; =>  This Inner Loop Header: Depth=2
	global_load_b64 v[1:2], v0, s[4:5] scope:SCOPE_SYS
	s_wait_loadcnt 0x0
	s_wait_alu 0xfffe
	v_cmp_ne_u64_e32 vcc_lo, s[8:9], v[1:2]
	s_cbranch_vccnz .LBB1_1337
; %bb.1338:                             ;   in Loop: Header=BB1_1 Depth=1
	v_dual_mov_b32 v1, s8 :: v_dual_mov_b32 v2, s9
	s_add_co_i32 s8, s2, 0x29d
	s_mov_b32 s9, s3
	global_store_b64 v0, v[1:2], s[6:7] scope:SCOPE_SYS
.LBB1_1339:                             ;   Parent Loop BB1_1 Depth=1
                                        ; =>  This Inner Loop Header: Depth=2
	global_load_b64 v[1:2], v0, s[4:5] scope:SCOPE_SYS
	s_wait_loadcnt 0x0
	s_wait_alu 0xfffe
	v_cmp_ne_u64_e32 vcc_lo, s[8:9], v[1:2]
	s_cbranch_vccnz .LBB1_1339
; %bb.1340:                             ;   in Loop: Header=BB1_1 Depth=1
	v_dual_mov_b32 v1, s8 :: v_dual_mov_b32 v2, s9
	s_add_co_i32 s8, s2, 0x29e
	s_mov_b32 s9, s3
	global_store_b64 v0, v[1:2], s[6:7] scope:SCOPE_SYS
.LBB1_1341:                             ;   Parent Loop BB1_1 Depth=1
                                        ; =>  This Inner Loop Header: Depth=2
	global_load_b64 v[1:2], v0, s[4:5] scope:SCOPE_SYS
	s_wait_loadcnt 0x0
	s_wait_alu 0xfffe
	v_cmp_ne_u64_e32 vcc_lo, s[8:9], v[1:2]
	s_cbranch_vccnz .LBB1_1341
; %bb.1342:                             ;   in Loop: Header=BB1_1 Depth=1
	v_dual_mov_b32 v1, s8 :: v_dual_mov_b32 v2, s9
	s_add_co_i32 s8, s2, 0x29f
	s_mov_b32 s9, s3
	global_store_b64 v0, v[1:2], s[6:7] scope:SCOPE_SYS
.LBB1_1343:                             ;   Parent Loop BB1_1 Depth=1
                                        ; =>  This Inner Loop Header: Depth=2
	global_load_b64 v[1:2], v0, s[4:5] scope:SCOPE_SYS
	s_wait_loadcnt 0x0
	s_wait_alu 0xfffe
	v_cmp_ne_u64_e32 vcc_lo, s[8:9], v[1:2]
	s_cbranch_vccnz .LBB1_1343
; %bb.1344:                             ;   in Loop: Header=BB1_1 Depth=1
	v_dual_mov_b32 v1, s8 :: v_dual_mov_b32 v2, s9
	s_add_co_i32 s8, s2, 0x2a0
	s_mov_b32 s9, s3
	global_store_b64 v0, v[1:2], s[6:7] scope:SCOPE_SYS
.LBB1_1345:                             ;   Parent Loop BB1_1 Depth=1
                                        ; =>  This Inner Loop Header: Depth=2
	global_load_b64 v[1:2], v0, s[4:5] scope:SCOPE_SYS
	s_wait_loadcnt 0x0
	s_wait_alu 0xfffe
	v_cmp_ne_u64_e32 vcc_lo, s[8:9], v[1:2]
	s_cbranch_vccnz .LBB1_1345
; %bb.1346:                             ;   in Loop: Header=BB1_1 Depth=1
	v_dual_mov_b32 v1, s8 :: v_dual_mov_b32 v2, s9
	s_add_co_i32 s8, s2, 0x2a1
	s_mov_b32 s9, s3
	global_store_b64 v0, v[1:2], s[6:7] scope:SCOPE_SYS
.LBB1_1347:                             ;   Parent Loop BB1_1 Depth=1
                                        ; =>  This Inner Loop Header: Depth=2
	global_load_b64 v[1:2], v0, s[4:5] scope:SCOPE_SYS
	s_wait_loadcnt 0x0
	s_wait_alu 0xfffe
	v_cmp_ne_u64_e32 vcc_lo, s[8:9], v[1:2]
	s_cbranch_vccnz .LBB1_1347
; %bb.1348:                             ;   in Loop: Header=BB1_1 Depth=1
	v_dual_mov_b32 v1, s8 :: v_dual_mov_b32 v2, s9
	s_add_co_i32 s8, s2, 0x2a2
	s_mov_b32 s9, s3
	global_store_b64 v0, v[1:2], s[6:7] scope:SCOPE_SYS
.LBB1_1349:                             ;   Parent Loop BB1_1 Depth=1
                                        ; =>  This Inner Loop Header: Depth=2
	global_load_b64 v[1:2], v0, s[4:5] scope:SCOPE_SYS
	s_wait_loadcnt 0x0
	s_wait_alu 0xfffe
	v_cmp_ne_u64_e32 vcc_lo, s[8:9], v[1:2]
	s_cbranch_vccnz .LBB1_1349
; %bb.1350:                             ;   in Loop: Header=BB1_1 Depth=1
	v_dual_mov_b32 v1, s8 :: v_dual_mov_b32 v2, s9
	s_add_co_i32 s8, s2, 0x2a3
	s_mov_b32 s9, s3
	global_store_b64 v0, v[1:2], s[6:7] scope:SCOPE_SYS
.LBB1_1351:                             ;   Parent Loop BB1_1 Depth=1
                                        ; =>  This Inner Loop Header: Depth=2
	global_load_b64 v[1:2], v0, s[4:5] scope:SCOPE_SYS
	s_wait_loadcnt 0x0
	s_wait_alu 0xfffe
	v_cmp_ne_u64_e32 vcc_lo, s[8:9], v[1:2]
	s_cbranch_vccnz .LBB1_1351
; %bb.1352:                             ;   in Loop: Header=BB1_1 Depth=1
	v_dual_mov_b32 v1, s8 :: v_dual_mov_b32 v2, s9
	s_add_co_i32 s8, s2, 0x2a4
	s_mov_b32 s9, s3
	global_store_b64 v0, v[1:2], s[6:7] scope:SCOPE_SYS
.LBB1_1353:                             ;   Parent Loop BB1_1 Depth=1
                                        ; =>  This Inner Loop Header: Depth=2
	global_load_b64 v[1:2], v0, s[4:5] scope:SCOPE_SYS
	s_wait_loadcnt 0x0
	s_wait_alu 0xfffe
	v_cmp_ne_u64_e32 vcc_lo, s[8:9], v[1:2]
	s_cbranch_vccnz .LBB1_1353
; %bb.1354:                             ;   in Loop: Header=BB1_1 Depth=1
	v_dual_mov_b32 v1, s8 :: v_dual_mov_b32 v2, s9
	s_add_co_i32 s8, s2, 0x2a5
	s_mov_b32 s9, s3
	global_store_b64 v0, v[1:2], s[6:7] scope:SCOPE_SYS
.LBB1_1355:                             ;   Parent Loop BB1_1 Depth=1
                                        ; =>  This Inner Loop Header: Depth=2
	global_load_b64 v[1:2], v0, s[4:5] scope:SCOPE_SYS
	s_wait_loadcnt 0x0
	s_wait_alu 0xfffe
	v_cmp_ne_u64_e32 vcc_lo, s[8:9], v[1:2]
	s_cbranch_vccnz .LBB1_1355
; %bb.1356:                             ;   in Loop: Header=BB1_1 Depth=1
	v_dual_mov_b32 v1, s8 :: v_dual_mov_b32 v2, s9
	s_add_co_i32 s8, s2, 0x2a6
	s_mov_b32 s9, s3
	global_store_b64 v0, v[1:2], s[6:7] scope:SCOPE_SYS
.LBB1_1357:                             ;   Parent Loop BB1_1 Depth=1
                                        ; =>  This Inner Loop Header: Depth=2
	global_load_b64 v[1:2], v0, s[4:5] scope:SCOPE_SYS
	s_wait_loadcnt 0x0
	s_wait_alu 0xfffe
	v_cmp_ne_u64_e32 vcc_lo, s[8:9], v[1:2]
	s_cbranch_vccnz .LBB1_1357
; %bb.1358:                             ;   in Loop: Header=BB1_1 Depth=1
	v_dual_mov_b32 v1, s8 :: v_dual_mov_b32 v2, s9
	s_add_co_i32 s8, s2, 0x2a7
	s_mov_b32 s9, s3
	global_store_b64 v0, v[1:2], s[6:7] scope:SCOPE_SYS
.LBB1_1359:                             ;   Parent Loop BB1_1 Depth=1
                                        ; =>  This Inner Loop Header: Depth=2
	global_load_b64 v[1:2], v0, s[4:5] scope:SCOPE_SYS
	s_wait_loadcnt 0x0
	s_wait_alu 0xfffe
	v_cmp_ne_u64_e32 vcc_lo, s[8:9], v[1:2]
	s_cbranch_vccnz .LBB1_1359
; %bb.1360:                             ;   in Loop: Header=BB1_1 Depth=1
	v_dual_mov_b32 v1, s8 :: v_dual_mov_b32 v2, s9
	s_add_co_i32 s8, s2, 0x2a8
	s_mov_b32 s9, s3
	global_store_b64 v0, v[1:2], s[6:7] scope:SCOPE_SYS
.LBB1_1361:                             ;   Parent Loop BB1_1 Depth=1
                                        ; =>  This Inner Loop Header: Depth=2
	global_load_b64 v[1:2], v0, s[4:5] scope:SCOPE_SYS
	s_wait_loadcnt 0x0
	s_wait_alu 0xfffe
	v_cmp_ne_u64_e32 vcc_lo, s[8:9], v[1:2]
	s_cbranch_vccnz .LBB1_1361
; %bb.1362:                             ;   in Loop: Header=BB1_1 Depth=1
	v_dual_mov_b32 v1, s8 :: v_dual_mov_b32 v2, s9
	s_add_co_i32 s8, s2, 0x2a9
	s_mov_b32 s9, s3
	global_store_b64 v0, v[1:2], s[6:7] scope:SCOPE_SYS
.LBB1_1363:                             ;   Parent Loop BB1_1 Depth=1
                                        ; =>  This Inner Loop Header: Depth=2
	global_load_b64 v[1:2], v0, s[4:5] scope:SCOPE_SYS
	s_wait_loadcnt 0x0
	s_wait_alu 0xfffe
	v_cmp_ne_u64_e32 vcc_lo, s[8:9], v[1:2]
	s_cbranch_vccnz .LBB1_1363
; %bb.1364:                             ;   in Loop: Header=BB1_1 Depth=1
	v_dual_mov_b32 v1, s8 :: v_dual_mov_b32 v2, s9
	s_add_co_i32 s8, s2, 0x2aa
	s_mov_b32 s9, s3
	global_store_b64 v0, v[1:2], s[6:7] scope:SCOPE_SYS
.LBB1_1365:                             ;   Parent Loop BB1_1 Depth=1
                                        ; =>  This Inner Loop Header: Depth=2
	global_load_b64 v[1:2], v0, s[4:5] scope:SCOPE_SYS
	s_wait_loadcnt 0x0
	s_wait_alu 0xfffe
	v_cmp_ne_u64_e32 vcc_lo, s[8:9], v[1:2]
	s_cbranch_vccnz .LBB1_1365
; %bb.1366:                             ;   in Loop: Header=BB1_1 Depth=1
	v_dual_mov_b32 v1, s8 :: v_dual_mov_b32 v2, s9
	s_add_co_i32 s8, s2, 0x2ab
	s_mov_b32 s9, s3
	global_store_b64 v0, v[1:2], s[6:7] scope:SCOPE_SYS
.LBB1_1367:                             ;   Parent Loop BB1_1 Depth=1
                                        ; =>  This Inner Loop Header: Depth=2
	global_load_b64 v[1:2], v0, s[4:5] scope:SCOPE_SYS
	s_wait_loadcnt 0x0
	s_wait_alu 0xfffe
	v_cmp_ne_u64_e32 vcc_lo, s[8:9], v[1:2]
	s_cbranch_vccnz .LBB1_1367
; %bb.1368:                             ;   in Loop: Header=BB1_1 Depth=1
	v_dual_mov_b32 v1, s8 :: v_dual_mov_b32 v2, s9
	s_add_co_i32 s8, s2, 0x2ac
	s_mov_b32 s9, s3
	global_store_b64 v0, v[1:2], s[6:7] scope:SCOPE_SYS
.LBB1_1369:                             ;   Parent Loop BB1_1 Depth=1
                                        ; =>  This Inner Loop Header: Depth=2
	global_load_b64 v[1:2], v0, s[4:5] scope:SCOPE_SYS
	s_wait_loadcnt 0x0
	s_wait_alu 0xfffe
	v_cmp_ne_u64_e32 vcc_lo, s[8:9], v[1:2]
	s_cbranch_vccnz .LBB1_1369
; %bb.1370:                             ;   in Loop: Header=BB1_1 Depth=1
	v_dual_mov_b32 v1, s8 :: v_dual_mov_b32 v2, s9
	s_add_co_i32 s8, s2, 0x2ad
	s_mov_b32 s9, s3
	global_store_b64 v0, v[1:2], s[6:7] scope:SCOPE_SYS
.LBB1_1371:                             ;   Parent Loop BB1_1 Depth=1
                                        ; =>  This Inner Loop Header: Depth=2
	global_load_b64 v[1:2], v0, s[4:5] scope:SCOPE_SYS
	s_wait_loadcnt 0x0
	s_wait_alu 0xfffe
	v_cmp_ne_u64_e32 vcc_lo, s[8:9], v[1:2]
	s_cbranch_vccnz .LBB1_1371
; %bb.1372:                             ;   in Loop: Header=BB1_1 Depth=1
	v_dual_mov_b32 v1, s8 :: v_dual_mov_b32 v2, s9
	s_add_co_i32 s8, s2, 0x2ae
	s_mov_b32 s9, s3
	global_store_b64 v0, v[1:2], s[6:7] scope:SCOPE_SYS
.LBB1_1373:                             ;   Parent Loop BB1_1 Depth=1
                                        ; =>  This Inner Loop Header: Depth=2
	global_load_b64 v[1:2], v0, s[4:5] scope:SCOPE_SYS
	s_wait_loadcnt 0x0
	s_wait_alu 0xfffe
	v_cmp_ne_u64_e32 vcc_lo, s[8:9], v[1:2]
	s_cbranch_vccnz .LBB1_1373
; %bb.1374:                             ;   in Loop: Header=BB1_1 Depth=1
	v_dual_mov_b32 v1, s8 :: v_dual_mov_b32 v2, s9
	s_add_co_i32 s8, s2, 0x2af
	s_mov_b32 s9, s3
	global_store_b64 v0, v[1:2], s[6:7] scope:SCOPE_SYS
.LBB1_1375:                             ;   Parent Loop BB1_1 Depth=1
                                        ; =>  This Inner Loop Header: Depth=2
	global_load_b64 v[1:2], v0, s[4:5] scope:SCOPE_SYS
	s_wait_loadcnt 0x0
	s_wait_alu 0xfffe
	v_cmp_ne_u64_e32 vcc_lo, s[8:9], v[1:2]
	s_cbranch_vccnz .LBB1_1375
; %bb.1376:                             ;   in Loop: Header=BB1_1 Depth=1
	v_dual_mov_b32 v1, s8 :: v_dual_mov_b32 v2, s9
	s_add_co_i32 s8, s2, 0x2b0
	s_mov_b32 s9, s3
	global_store_b64 v0, v[1:2], s[6:7] scope:SCOPE_SYS
.LBB1_1377:                             ;   Parent Loop BB1_1 Depth=1
                                        ; =>  This Inner Loop Header: Depth=2
	global_load_b64 v[1:2], v0, s[4:5] scope:SCOPE_SYS
	s_wait_loadcnt 0x0
	s_wait_alu 0xfffe
	v_cmp_ne_u64_e32 vcc_lo, s[8:9], v[1:2]
	s_cbranch_vccnz .LBB1_1377
; %bb.1378:                             ;   in Loop: Header=BB1_1 Depth=1
	v_dual_mov_b32 v1, s8 :: v_dual_mov_b32 v2, s9
	s_add_co_i32 s8, s2, 0x2b1
	s_mov_b32 s9, s3
	global_store_b64 v0, v[1:2], s[6:7] scope:SCOPE_SYS
.LBB1_1379:                             ;   Parent Loop BB1_1 Depth=1
                                        ; =>  This Inner Loop Header: Depth=2
	global_load_b64 v[1:2], v0, s[4:5] scope:SCOPE_SYS
	s_wait_loadcnt 0x0
	s_wait_alu 0xfffe
	v_cmp_ne_u64_e32 vcc_lo, s[8:9], v[1:2]
	s_cbranch_vccnz .LBB1_1379
; %bb.1380:                             ;   in Loop: Header=BB1_1 Depth=1
	v_dual_mov_b32 v1, s8 :: v_dual_mov_b32 v2, s9
	s_add_co_i32 s8, s2, 0x2b2
	s_mov_b32 s9, s3
	global_store_b64 v0, v[1:2], s[6:7] scope:SCOPE_SYS
.LBB1_1381:                             ;   Parent Loop BB1_1 Depth=1
                                        ; =>  This Inner Loop Header: Depth=2
	global_load_b64 v[1:2], v0, s[4:5] scope:SCOPE_SYS
	s_wait_loadcnt 0x0
	s_wait_alu 0xfffe
	v_cmp_ne_u64_e32 vcc_lo, s[8:9], v[1:2]
	s_cbranch_vccnz .LBB1_1381
; %bb.1382:                             ;   in Loop: Header=BB1_1 Depth=1
	v_dual_mov_b32 v1, s8 :: v_dual_mov_b32 v2, s9
	s_add_co_i32 s8, s2, 0x2b3
	s_mov_b32 s9, s3
	global_store_b64 v0, v[1:2], s[6:7] scope:SCOPE_SYS
.LBB1_1383:                             ;   Parent Loop BB1_1 Depth=1
                                        ; =>  This Inner Loop Header: Depth=2
	global_load_b64 v[1:2], v0, s[4:5] scope:SCOPE_SYS
	s_wait_loadcnt 0x0
	s_wait_alu 0xfffe
	v_cmp_ne_u64_e32 vcc_lo, s[8:9], v[1:2]
	s_cbranch_vccnz .LBB1_1383
; %bb.1384:                             ;   in Loop: Header=BB1_1 Depth=1
	v_dual_mov_b32 v1, s8 :: v_dual_mov_b32 v2, s9
	s_add_co_i32 s8, s2, 0x2b4
	s_mov_b32 s9, s3
	global_store_b64 v0, v[1:2], s[6:7] scope:SCOPE_SYS
.LBB1_1385:                             ;   Parent Loop BB1_1 Depth=1
                                        ; =>  This Inner Loop Header: Depth=2
	global_load_b64 v[1:2], v0, s[4:5] scope:SCOPE_SYS
	s_wait_loadcnt 0x0
	s_wait_alu 0xfffe
	v_cmp_ne_u64_e32 vcc_lo, s[8:9], v[1:2]
	s_cbranch_vccnz .LBB1_1385
; %bb.1386:                             ;   in Loop: Header=BB1_1 Depth=1
	v_dual_mov_b32 v1, s8 :: v_dual_mov_b32 v2, s9
	s_add_co_i32 s8, s2, 0x2b5
	s_mov_b32 s9, s3
	global_store_b64 v0, v[1:2], s[6:7] scope:SCOPE_SYS
.LBB1_1387:                             ;   Parent Loop BB1_1 Depth=1
                                        ; =>  This Inner Loop Header: Depth=2
	global_load_b64 v[1:2], v0, s[4:5] scope:SCOPE_SYS
	s_wait_loadcnt 0x0
	s_wait_alu 0xfffe
	v_cmp_ne_u64_e32 vcc_lo, s[8:9], v[1:2]
	s_cbranch_vccnz .LBB1_1387
; %bb.1388:                             ;   in Loop: Header=BB1_1 Depth=1
	v_dual_mov_b32 v1, s8 :: v_dual_mov_b32 v2, s9
	s_add_co_i32 s8, s2, 0x2b6
	s_mov_b32 s9, s3
	global_store_b64 v0, v[1:2], s[6:7] scope:SCOPE_SYS
.LBB1_1389:                             ;   Parent Loop BB1_1 Depth=1
                                        ; =>  This Inner Loop Header: Depth=2
	global_load_b64 v[1:2], v0, s[4:5] scope:SCOPE_SYS
	s_wait_loadcnt 0x0
	s_wait_alu 0xfffe
	v_cmp_ne_u64_e32 vcc_lo, s[8:9], v[1:2]
	s_cbranch_vccnz .LBB1_1389
; %bb.1390:                             ;   in Loop: Header=BB1_1 Depth=1
	v_dual_mov_b32 v1, s8 :: v_dual_mov_b32 v2, s9
	s_add_co_i32 s8, s2, 0x2b7
	s_mov_b32 s9, s3
	global_store_b64 v0, v[1:2], s[6:7] scope:SCOPE_SYS
.LBB1_1391:                             ;   Parent Loop BB1_1 Depth=1
                                        ; =>  This Inner Loop Header: Depth=2
	global_load_b64 v[1:2], v0, s[4:5] scope:SCOPE_SYS
	s_wait_loadcnt 0x0
	s_wait_alu 0xfffe
	v_cmp_ne_u64_e32 vcc_lo, s[8:9], v[1:2]
	s_cbranch_vccnz .LBB1_1391
; %bb.1392:                             ;   in Loop: Header=BB1_1 Depth=1
	v_dual_mov_b32 v1, s8 :: v_dual_mov_b32 v2, s9
	s_add_co_i32 s8, s2, 0x2b8
	s_mov_b32 s9, s3
	global_store_b64 v0, v[1:2], s[6:7] scope:SCOPE_SYS
.LBB1_1393:                             ;   Parent Loop BB1_1 Depth=1
                                        ; =>  This Inner Loop Header: Depth=2
	global_load_b64 v[1:2], v0, s[4:5] scope:SCOPE_SYS
	s_wait_loadcnt 0x0
	s_wait_alu 0xfffe
	v_cmp_ne_u64_e32 vcc_lo, s[8:9], v[1:2]
	s_cbranch_vccnz .LBB1_1393
; %bb.1394:                             ;   in Loop: Header=BB1_1 Depth=1
	v_dual_mov_b32 v1, s8 :: v_dual_mov_b32 v2, s9
	s_add_co_i32 s8, s2, 0x2b9
	s_mov_b32 s9, s3
	global_store_b64 v0, v[1:2], s[6:7] scope:SCOPE_SYS
.LBB1_1395:                             ;   Parent Loop BB1_1 Depth=1
                                        ; =>  This Inner Loop Header: Depth=2
	global_load_b64 v[1:2], v0, s[4:5] scope:SCOPE_SYS
	s_wait_loadcnt 0x0
	s_wait_alu 0xfffe
	v_cmp_ne_u64_e32 vcc_lo, s[8:9], v[1:2]
	s_cbranch_vccnz .LBB1_1395
; %bb.1396:                             ;   in Loop: Header=BB1_1 Depth=1
	v_dual_mov_b32 v1, s8 :: v_dual_mov_b32 v2, s9
	s_add_co_i32 s8, s2, 0x2ba
	s_mov_b32 s9, s3
	global_store_b64 v0, v[1:2], s[6:7] scope:SCOPE_SYS
.LBB1_1397:                             ;   Parent Loop BB1_1 Depth=1
                                        ; =>  This Inner Loop Header: Depth=2
	global_load_b64 v[1:2], v0, s[4:5] scope:SCOPE_SYS
	s_wait_loadcnt 0x0
	s_wait_alu 0xfffe
	v_cmp_ne_u64_e32 vcc_lo, s[8:9], v[1:2]
	s_cbranch_vccnz .LBB1_1397
; %bb.1398:                             ;   in Loop: Header=BB1_1 Depth=1
	v_dual_mov_b32 v1, s8 :: v_dual_mov_b32 v2, s9
	s_add_co_i32 s8, s2, 0x2bb
	s_mov_b32 s9, s3
	global_store_b64 v0, v[1:2], s[6:7] scope:SCOPE_SYS
.LBB1_1399:                             ;   Parent Loop BB1_1 Depth=1
                                        ; =>  This Inner Loop Header: Depth=2
	global_load_b64 v[1:2], v0, s[4:5] scope:SCOPE_SYS
	s_wait_loadcnt 0x0
	s_wait_alu 0xfffe
	v_cmp_ne_u64_e32 vcc_lo, s[8:9], v[1:2]
	s_cbranch_vccnz .LBB1_1399
; %bb.1400:                             ;   in Loop: Header=BB1_1 Depth=1
	v_dual_mov_b32 v1, s8 :: v_dual_mov_b32 v2, s9
	s_add_co_i32 s8, s2, 0x2bc
	s_mov_b32 s9, s3
	global_store_b64 v0, v[1:2], s[6:7] scope:SCOPE_SYS
.LBB1_1401:                             ;   Parent Loop BB1_1 Depth=1
                                        ; =>  This Inner Loop Header: Depth=2
	global_load_b64 v[1:2], v0, s[4:5] scope:SCOPE_SYS
	s_wait_loadcnt 0x0
	s_wait_alu 0xfffe
	v_cmp_ne_u64_e32 vcc_lo, s[8:9], v[1:2]
	s_cbranch_vccnz .LBB1_1401
; %bb.1402:                             ;   in Loop: Header=BB1_1 Depth=1
	v_dual_mov_b32 v1, s8 :: v_dual_mov_b32 v2, s9
	s_add_co_i32 s8, s2, 0x2bd
	s_mov_b32 s9, s3
	global_store_b64 v0, v[1:2], s[6:7] scope:SCOPE_SYS
.LBB1_1403:                             ;   Parent Loop BB1_1 Depth=1
                                        ; =>  This Inner Loop Header: Depth=2
	global_load_b64 v[1:2], v0, s[4:5] scope:SCOPE_SYS
	s_wait_loadcnt 0x0
	s_wait_alu 0xfffe
	v_cmp_ne_u64_e32 vcc_lo, s[8:9], v[1:2]
	s_cbranch_vccnz .LBB1_1403
; %bb.1404:                             ;   in Loop: Header=BB1_1 Depth=1
	v_dual_mov_b32 v1, s8 :: v_dual_mov_b32 v2, s9
	s_add_co_i32 s8, s2, 0x2be
	s_mov_b32 s9, s3
	global_store_b64 v0, v[1:2], s[6:7] scope:SCOPE_SYS
.LBB1_1405:                             ;   Parent Loop BB1_1 Depth=1
                                        ; =>  This Inner Loop Header: Depth=2
	global_load_b64 v[1:2], v0, s[4:5] scope:SCOPE_SYS
	s_wait_loadcnt 0x0
	s_wait_alu 0xfffe
	v_cmp_ne_u64_e32 vcc_lo, s[8:9], v[1:2]
	s_cbranch_vccnz .LBB1_1405
; %bb.1406:                             ;   in Loop: Header=BB1_1 Depth=1
	v_dual_mov_b32 v1, s8 :: v_dual_mov_b32 v2, s9
	s_add_co_i32 s8, s2, 0x2bf
	s_mov_b32 s9, s3
	global_store_b64 v0, v[1:2], s[6:7] scope:SCOPE_SYS
.LBB1_1407:                             ;   Parent Loop BB1_1 Depth=1
                                        ; =>  This Inner Loop Header: Depth=2
	global_load_b64 v[1:2], v0, s[4:5] scope:SCOPE_SYS
	s_wait_loadcnt 0x0
	s_wait_alu 0xfffe
	v_cmp_ne_u64_e32 vcc_lo, s[8:9], v[1:2]
	s_cbranch_vccnz .LBB1_1407
; %bb.1408:                             ;   in Loop: Header=BB1_1 Depth=1
	v_dual_mov_b32 v1, s8 :: v_dual_mov_b32 v2, s9
	s_add_co_i32 s8, s2, 0x2c0
	s_mov_b32 s9, s3
	global_store_b64 v0, v[1:2], s[6:7] scope:SCOPE_SYS
.LBB1_1409:                             ;   Parent Loop BB1_1 Depth=1
                                        ; =>  This Inner Loop Header: Depth=2
	global_load_b64 v[1:2], v0, s[4:5] scope:SCOPE_SYS
	s_wait_loadcnt 0x0
	s_wait_alu 0xfffe
	v_cmp_ne_u64_e32 vcc_lo, s[8:9], v[1:2]
	s_cbranch_vccnz .LBB1_1409
; %bb.1410:                             ;   in Loop: Header=BB1_1 Depth=1
	v_dual_mov_b32 v1, s8 :: v_dual_mov_b32 v2, s9
	s_add_co_i32 s8, s2, 0x2c1
	s_mov_b32 s9, s3
	global_store_b64 v0, v[1:2], s[6:7] scope:SCOPE_SYS
.LBB1_1411:                             ;   Parent Loop BB1_1 Depth=1
                                        ; =>  This Inner Loop Header: Depth=2
	global_load_b64 v[1:2], v0, s[4:5] scope:SCOPE_SYS
	s_wait_loadcnt 0x0
	s_wait_alu 0xfffe
	v_cmp_ne_u64_e32 vcc_lo, s[8:9], v[1:2]
	s_cbranch_vccnz .LBB1_1411
; %bb.1412:                             ;   in Loop: Header=BB1_1 Depth=1
	v_dual_mov_b32 v1, s8 :: v_dual_mov_b32 v2, s9
	s_add_co_i32 s8, s2, 0x2c2
	s_mov_b32 s9, s3
	global_store_b64 v0, v[1:2], s[6:7] scope:SCOPE_SYS
.LBB1_1413:                             ;   Parent Loop BB1_1 Depth=1
                                        ; =>  This Inner Loop Header: Depth=2
	global_load_b64 v[1:2], v0, s[4:5] scope:SCOPE_SYS
	s_wait_loadcnt 0x0
	s_wait_alu 0xfffe
	v_cmp_ne_u64_e32 vcc_lo, s[8:9], v[1:2]
	s_cbranch_vccnz .LBB1_1413
; %bb.1414:                             ;   in Loop: Header=BB1_1 Depth=1
	v_dual_mov_b32 v1, s8 :: v_dual_mov_b32 v2, s9
	s_add_co_i32 s8, s2, 0x2c3
	s_mov_b32 s9, s3
	global_store_b64 v0, v[1:2], s[6:7] scope:SCOPE_SYS
.LBB1_1415:                             ;   Parent Loop BB1_1 Depth=1
                                        ; =>  This Inner Loop Header: Depth=2
	global_load_b64 v[1:2], v0, s[4:5] scope:SCOPE_SYS
	s_wait_loadcnt 0x0
	s_wait_alu 0xfffe
	v_cmp_ne_u64_e32 vcc_lo, s[8:9], v[1:2]
	s_cbranch_vccnz .LBB1_1415
; %bb.1416:                             ;   in Loop: Header=BB1_1 Depth=1
	v_dual_mov_b32 v1, s8 :: v_dual_mov_b32 v2, s9
	s_add_co_i32 s8, s2, 0x2c4
	s_mov_b32 s9, s3
	global_store_b64 v0, v[1:2], s[6:7] scope:SCOPE_SYS
.LBB1_1417:                             ;   Parent Loop BB1_1 Depth=1
                                        ; =>  This Inner Loop Header: Depth=2
	global_load_b64 v[1:2], v0, s[4:5] scope:SCOPE_SYS
	s_wait_loadcnt 0x0
	s_wait_alu 0xfffe
	v_cmp_ne_u64_e32 vcc_lo, s[8:9], v[1:2]
	s_cbranch_vccnz .LBB1_1417
; %bb.1418:                             ;   in Loop: Header=BB1_1 Depth=1
	v_dual_mov_b32 v1, s8 :: v_dual_mov_b32 v2, s9
	s_add_co_i32 s8, s2, 0x2c5
	s_mov_b32 s9, s3
	global_store_b64 v0, v[1:2], s[6:7] scope:SCOPE_SYS
.LBB1_1419:                             ;   Parent Loop BB1_1 Depth=1
                                        ; =>  This Inner Loop Header: Depth=2
	global_load_b64 v[1:2], v0, s[4:5] scope:SCOPE_SYS
	s_wait_loadcnt 0x0
	s_wait_alu 0xfffe
	v_cmp_ne_u64_e32 vcc_lo, s[8:9], v[1:2]
	s_cbranch_vccnz .LBB1_1419
; %bb.1420:                             ;   in Loop: Header=BB1_1 Depth=1
	v_dual_mov_b32 v1, s8 :: v_dual_mov_b32 v2, s9
	s_add_co_i32 s8, s2, 0x2c6
	s_mov_b32 s9, s3
	global_store_b64 v0, v[1:2], s[6:7] scope:SCOPE_SYS
.LBB1_1421:                             ;   Parent Loop BB1_1 Depth=1
                                        ; =>  This Inner Loop Header: Depth=2
	global_load_b64 v[1:2], v0, s[4:5] scope:SCOPE_SYS
	s_wait_loadcnt 0x0
	s_wait_alu 0xfffe
	v_cmp_ne_u64_e32 vcc_lo, s[8:9], v[1:2]
	s_cbranch_vccnz .LBB1_1421
; %bb.1422:                             ;   in Loop: Header=BB1_1 Depth=1
	v_dual_mov_b32 v1, s8 :: v_dual_mov_b32 v2, s9
	s_add_co_i32 s8, s2, 0x2c7
	s_mov_b32 s9, s3
	global_store_b64 v0, v[1:2], s[6:7] scope:SCOPE_SYS
.LBB1_1423:                             ;   Parent Loop BB1_1 Depth=1
                                        ; =>  This Inner Loop Header: Depth=2
	global_load_b64 v[1:2], v0, s[4:5] scope:SCOPE_SYS
	s_wait_loadcnt 0x0
	s_wait_alu 0xfffe
	v_cmp_ne_u64_e32 vcc_lo, s[8:9], v[1:2]
	s_cbranch_vccnz .LBB1_1423
; %bb.1424:                             ;   in Loop: Header=BB1_1 Depth=1
	v_dual_mov_b32 v1, s8 :: v_dual_mov_b32 v2, s9
	s_add_co_i32 s8, s2, 0x2c8
	s_mov_b32 s9, s3
	global_store_b64 v0, v[1:2], s[6:7] scope:SCOPE_SYS
.LBB1_1425:                             ;   Parent Loop BB1_1 Depth=1
                                        ; =>  This Inner Loop Header: Depth=2
	global_load_b64 v[1:2], v0, s[4:5] scope:SCOPE_SYS
	s_wait_loadcnt 0x0
	s_wait_alu 0xfffe
	v_cmp_ne_u64_e32 vcc_lo, s[8:9], v[1:2]
	s_cbranch_vccnz .LBB1_1425
; %bb.1426:                             ;   in Loop: Header=BB1_1 Depth=1
	v_dual_mov_b32 v1, s8 :: v_dual_mov_b32 v2, s9
	s_add_co_i32 s8, s2, 0x2c9
	s_mov_b32 s9, s3
	global_store_b64 v0, v[1:2], s[6:7] scope:SCOPE_SYS
.LBB1_1427:                             ;   Parent Loop BB1_1 Depth=1
                                        ; =>  This Inner Loop Header: Depth=2
	global_load_b64 v[1:2], v0, s[4:5] scope:SCOPE_SYS
	s_wait_loadcnt 0x0
	s_wait_alu 0xfffe
	v_cmp_ne_u64_e32 vcc_lo, s[8:9], v[1:2]
	s_cbranch_vccnz .LBB1_1427
; %bb.1428:                             ;   in Loop: Header=BB1_1 Depth=1
	v_dual_mov_b32 v1, s8 :: v_dual_mov_b32 v2, s9
	s_add_co_i32 s8, s2, 0x2ca
	s_mov_b32 s9, s3
	global_store_b64 v0, v[1:2], s[6:7] scope:SCOPE_SYS
.LBB1_1429:                             ;   Parent Loop BB1_1 Depth=1
                                        ; =>  This Inner Loop Header: Depth=2
	global_load_b64 v[1:2], v0, s[4:5] scope:SCOPE_SYS
	s_wait_loadcnt 0x0
	s_wait_alu 0xfffe
	v_cmp_ne_u64_e32 vcc_lo, s[8:9], v[1:2]
	s_cbranch_vccnz .LBB1_1429
; %bb.1430:                             ;   in Loop: Header=BB1_1 Depth=1
	v_dual_mov_b32 v1, s8 :: v_dual_mov_b32 v2, s9
	s_add_co_i32 s8, s2, 0x2cb
	s_mov_b32 s9, s3
	global_store_b64 v0, v[1:2], s[6:7] scope:SCOPE_SYS
.LBB1_1431:                             ;   Parent Loop BB1_1 Depth=1
                                        ; =>  This Inner Loop Header: Depth=2
	global_load_b64 v[1:2], v0, s[4:5] scope:SCOPE_SYS
	s_wait_loadcnt 0x0
	s_wait_alu 0xfffe
	v_cmp_ne_u64_e32 vcc_lo, s[8:9], v[1:2]
	s_cbranch_vccnz .LBB1_1431
; %bb.1432:                             ;   in Loop: Header=BB1_1 Depth=1
	v_dual_mov_b32 v1, s8 :: v_dual_mov_b32 v2, s9
	s_add_co_i32 s8, s2, 0x2cc
	s_mov_b32 s9, s3
	global_store_b64 v0, v[1:2], s[6:7] scope:SCOPE_SYS
.LBB1_1433:                             ;   Parent Loop BB1_1 Depth=1
                                        ; =>  This Inner Loop Header: Depth=2
	global_load_b64 v[1:2], v0, s[4:5] scope:SCOPE_SYS
	s_wait_loadcnt 0x0
	s_wait_alu 0xfffe
	v_cmp_ne_u64_e32 vcc_lo, s[8:9], v[1:2]
	s_cbranch_vccnz .LBB1_1433
; %bb.1434:                             ;   in Loop: Header=BB1_1 Depth=1
	v_dual_mov_b32 v1, s8 :: v_dual_mov_b32 v2, s9
	s_add_co_i32 s8, s2, 0x2cd
	s_mov_b32 s9, s3
	global_store_b64 v0, v[1:2], s[6:7] scope:SCOPE_SYS
.LBB1_1435:                             ;   Parent Loop BB1_1 Depth=1
                                        ; =>  This Inner Loop Header: Depth=2
	global_load_b64 v[1:2], v0, s[4:5] scope:SCOPE_SYS
	s_wait_loadcnt 0x0
	s_wait_alu 0xfffe
	v_cmp_ne_u64_e32 vcc_lo, s[8:9], v[1:2]
	s_cbranch_vccnz .LBB1_1435
; %bb.1436:                             ;   in Loop: Header=BB1_1 Depth=1
	v_dual_mov_b32 v1, s8 :: v_dual_mov_b32 v2, s9
	s_add_co_i32 s8, s2, 0x2ce
	s_mov_b32 s9, s3
	global_store_b64 v0, v[1:2], s[6:7] scope:SCOPE_SYS
.LBB1_1437:                             ;   Parent Loop BB1_1 Depth=1
                                        ; =>  This Inner Loop Header: Depth=2
	global_load_b64 v[1:2], v0, s[4:5] scope:SCOPE_SYS
	s_wait_loadcnt 0x0
	s_wait_alu 0xfffe
	v_cmp_ne_u64_e32 vcc_lo, s[8:9], v[1:2]
	s_cbranch_vccnz .LBB1_1437
; %bb.1438:                             ;   in Loop: Header=BB1_1 Depth=1
	v_dual_mov_b32 v1, s8 :: v_dual_mov_b32 v2, s9
	s_add_co_i32 s8, s2, 0x2cf
	s_mov_b32 s9, s3
	global_store_b64 v0, v[1:2], s[6:7] scope:SCOPE_SYS
.LBB1_1439:                             ;   Parent Loop BB1_1 Depth=1
                                        ; =>  This Inner Loop Header: Depth=2
	global_load_b64 v[1:2], v0, s[4:5] scope:SCOPE_SYS
	s_wait_loadcnt 0x0
	s_wait_alu 0xfffe
	v_cmp_ne_u64_e32 vcc_lo, s[8:9], v[1:2]
	s_cbranch_vccnz .LBB1_1439
; %bb.1440:                             ;   in Loop: Header=BB1_1 Depth=1
	v_dual_mov_b32 v1, s8 :: v_dual_mov_b32 v2, s9
	s_add_co_i32 s8, s2, 0x2d0
	s_mov_b32 s9, s3
	global_store_b64 v0, v[1:2], s[6:7] scope:SCOPE_SYS
.LBB1_1441:                             ;   Parent Loop BB1_1 Depth=1
                                        ; =>  This Inner Loop Header: Depth=2
	global_load_b64 v[1:2], v0, s[4:5] scope:SCOPE_SYS
	s_wait_loadcnt 0x0
	s_wait_alu 0xfffe
	v_cmp_ne_u64_e32 vcc_lo, s[8:9], v[1:2]
	s_cbranch_vccnz .LBB1_1441
; %bb.1442:                             ;   in Loop: Header=BB1_1 Depth=1
	v_dual_mov_b32 v1, s8 :: v_dual_mov_b32 v2, s9
	s_add_co_i32 s8, s2, 0x2d1
	s_mov_b32 s9, s3
	global_store_b64 v0, v[1:2], s[6:7] scope:SCOPE_SYS
.LBB1_1443:                             ;   Parent Loop BB1_1 Depth=1
                                        ; =>  This Inner Loop Header: Depth=2
	global_load_b64 v[1:2], v0, s[4:5] scope:SCOPE_SYS
	s_wait_loadcnt 0x0
	s_wait_alu 0xfffe
	v_cmp_ne_u64_e32 vcc_lo, s[8:9], v[1:2]
	s_cbranch_vccnz .LBB1_1443
; %bb.1444:                             ;   in Loop: Header=BB1_1 Depth=1
	v_dual_mov_b32 v1, s8 :: v_dual_mov_b32 v2, s9
	s_add_co_i32 s8, s2, 0x2d2
	s_mov_b32 s9, s3
	global_store_b64 v0, v[1:2], s[6:7] scope:SCOPE_SYS
.LBB1_1445:                             ;   Parent Loop BB1_1 Depth=1
                                        ; =>  This Inner Loop Header: Depth=2
	global_load_b64 v[1:2], v0, s[4:5] scope:SCOPE_SYS
	s_wait_loadcnt 0x0
	s_wait_alu 0xfffe
	v_cmp_ne_u64_e32 vcc_lo, s[8:9], v[1:2]
	s_cbranch_vccnz .LBB1_1445
; %bb.1446:                             ;   in Loop: Header=BB1_1 Depth=1
	v_dual_mov_b32 v1, s8 :: v_dual_mov_b32 v2, s9
	s_add_co_i32 s8, s2, 0x2d3
	s_mov_b32 s9, s3
	global_store_b64 v0, v[1:2], s[6:7] scope:SCOPE_SYS
.LBB1_1447:                             ;   Parent Loop BB1_1 Depth=1
                                        ; =>  This Inner Loop Header: Depth=2
	global_load_b64 v[1:2], v0, s[4:5] scope:SCOPE_SYS
	s_wait_loadcnt 0x0
	s_wait_alu 0xfffe
	v_cmp_ne_u64_e32 vcc_lo, s[8:9], v[1:2]
	s_cbranch_vccnz .LBB1_1447
; %bb.1448:                             ;   in Loop: Header=BB1_1 Depth=1
	v_dual_mov_b32 v1, s8 :: v_dual_mov_b32 v2, s9
	s_add_co_i32 s8, s2, 0x2d4
	s_mov_b32 s9, s3
	global_store_b64 v0, v[1:2], s[6:7] scope:SCOPE_SYS
.LBB1_1449:                             ;   Parent Loop BB1_1 Depth=1
                                        ; =>  This Inner Loop Header: Depth=2
	global_load_b64 v[1:2], v0, s[4:5] scope:SCOPE_SYS
	s_wait_loadcnt 0x0
	s_wait_alu 0xfffe
	v_cmp_ne_u64_e32 vcc_lo, s[8:9], v[1:2]
	s_cbranch_vccnz .LBB1_1449
; %bb.1450:                             ;   in Loop: Header=BB1_1 Depth=1
	v_dual_mov_b32 v1, s8 :: v_dual_mov_b32 v2, s9
	s_add_co_i32 s8, s2, 0x2d5
	s_mov_b32 s9, s3
	global_store_b64 v0, v[1:2], s[6:7] scope:SCOPE_SYS
.LBB1_1451:                             ;   Parent Loop BB1_1 Depth=1
                                        ; =>  This Inner Loop Header: Depth=2
	global_load_b64 v[1:2], v0, s[4:5] scope:SCOPE_SYS
	s_wait_loadcnt 0x0
	s_wait_alu 0xfffe
	v_cmp_ne_u64_e32 vcc_lo, s[8:9], v[1:2]
	s_cbranch_vccnz .LBB1_1451
; %bb.1452:                             ;   in Loop: Header=BB1_1 Depth=1
	v_dual_mov_b32 v1, s8 :: v_dual_mov_b32 v2, s9
	s_add_co_i32 s8, s2, 0x2d6
	s_mov_b32 s9, s3
	global_store_b64 v0, v[1:2], s[6:7] scope:SCOPE_SYS
.LBB1_1453:                             ;   Parent Loop BB1_1 Depth=1
                                        ; =>  This Inner Loop Header: Depth=2
	global_load_b64 v[1:2], v0, s[4:5] scope:SCOPE_SYS
	s_wait_loadcnt 0x0
	s_wait_alu 0xfffe
	v_cmp_ne_u64_e32 vcc_lo, s[8:9], v[1:2]
	s_cbranch_vccnz .LBB1_1453
; %bb.1454:                             ;   in Loop: Header=BB1_1 Depth=1
	v_dual_mov_b32 v1, s8 :: v_dual_mov_b32 v2, s9
	s_add_co_i32 s8, s2, 0x2d7
	s_mov_b32 s9, s3
	global_store_b64 v0, v[1:2], s[6:7] scope:SCOPE_SYS
.LBB1_1455:                             ;   Parent Loop BB1_1 Depth=1
                                        ; =>  This Inner Loop Header: Depth=2
	global_load_b64 v[1:2], v0, s[4:5] scope:SCOPE_SYS
	s_wait_loadcnt 0x0
	s_wait_alu 0xfffe
	v_cmp_ne_u64_e32 vcc_lo, s[8:9], v[1:2]
	s_cbranch_vccnz .LBB1_1455
; %bb.1456:                             ;   in Loop: Header=BB1_1 Depth=1
	v_dual_mov_b32 v1, s8 :: v_dual_mov_b32 v2, s9
	s_add_co_i32 s8, s2, 0x2d8
	s_mov_b32 s9, s3
	global_store_b64 v0, v[1:2], s[6:7] scope:SCOPE_SYS
.LBB1_1457:                             ;   Parent Loop BB1_1 Depth=1
                                        ; =>  This Inner Loop Header: Depth=2
	global_load_b64 v[1:2], v0, s[4:5] scope:SCOPE_SYS
	s_wait_loadcnt 0x0
	s_wait_alu 0xfffe
	v_cmp_ne_u64_e32 vcc_lo, s[8:9], v[1:2]
	s_cbranch_vccnz .LBB1_1457
; %bb.1458:                             ;   in Loop: Header=BB1_1 Depth=1
	v_dual_mov_b32 v1, s8 :: v_dual_mov_b32 v2, s9
	s_add_co_i32 s8, s2, 0x2d9
	s_mov_b32 s9, s3
	global_store_b64 v0, v[1:2], s[6:7] scope:SCOPE_SYS
.LBB1_1459:                             ;   Parent Loop BB1_1 Depth=1
                                        ; =>  This Inner Loop Header: Depth=2
	global_load_b64 v[1:2], v0, s[4:5] scope:SCOPE_SYS
	s_wait_loadcnt 0x0
	s_wait_alu 0xfffe
	v_cmp_ne_u64_e32 vcc_lo, s[8:9], v[1:2]
	s_cbranch_vccnz .LBB1_1459
; %bb.1460:                             ;   in Loop: Header=BB1_1 Depth=1
	v_dual_mov_b32 v1, s8 :: v_dual_mov_b32 v2, s9
	s_add_co_i32 s8, s2, 0x2da
	s_mov_b32 s9, s3
	global_store_b64 v0, v[1:2], s[6:7] scope:SCOPE_SYS
.LBB1_1461:                             ;   Parent Loop BB1_1 Depth=1
                                        ; =>  This Inner Loop Header: Depth=2
	global_load_b64 v[1:2], v0, s[4:5] scope:SCOPE_SYS
	s_wait_loadcnt 0x0
	s_wait_alu 0xfffe
	v_cmp_ne_u64_e32 vcc_lo, s[8:9], v[1:2]
	s_cbranch_vccnz .LBB1_1461
; %bb.1462:                             ;   in Loop: Header=BB1_1 Depth=1
	v_dual_mov_b32 v1, s8 :: v_dual_mov_b32 v2, s9
	s_add_co_i32 s8, s2, 0x2db
	s_mov_b32 s9, s3
	global_store_b64 v0, v[1:2], s[6:7] scope:SCOPE_SYS
.LBB1_1463:                             ;   Parent Loop BB1_1 Depth=1
                                        ; =>  This Inner Loop Header: Depth=2
	global_load_b64 v[1:2], v0, s[4:5] scope:SCOPE_SYS
	s_wait_loadcnt 0x0
	s_wait_alu 0xfffe
	v_cmp_ne_u64_e32 vcc_lo, s[8:9], v[1:2]
	s_cbranch_vccnz .LBB1_1463
; %bb.1464:                             ;   in Loop: Header=BB1_1 Depth=1
	v_dual_mov_b32 v1, s8 :: v_dual_mov_b32 v2, s9
	s_add_co_i32 s8, s2, 0x2dc
	s_mov_b32 s9, s3
	global_store_b64 v0, v[1:2], s[6:7] scope:SCOPE_SYS
.LBB1_1465:                             ;   Parent Loop BB1_1 Depth=1
                                        ; =>  This Inner Loop Header: Depth=2
	global_load_b64 v[1:2], v0, s[4:5] scope:SCOPE_SYS
	s_wait_loadcnt 0x0
	s_wait_alu 0xfffe
	v_cmp_ne_u64_e32 vcc_lo, s[8:9], v[1:2]
	s_cbranch_vccnz .LBB1_1465
; %bb.1466:                             ;   in Loop: Header=BB1_1 Depth=1
	v_dual_mov_b32 v1, s8 :: v_dual_mov_b32 v2, s9
	s_add_co_i32 s8, s2, 0x2dd
	s_mov_b32 s9, s3
	global_store_b64 v0, v[1:2], s[6:7] scope:SCOPE_SYS
.LBB1_1467:                             ;   Parent Loop BB1_1 Depth=1
                                        ; =>  This Inner Loop Header: Depth=2
	global_load_b64 v[1:2], v0, s[4:5] scope:SCOPE_SYS
	s_wait_loadcnt 0x0
	s_wait_alu 0xfffe
	v_cmp_ne_u64_e32 vcc_lo, s[8:9], v[1:2]
	s_cbranch_vccnz .LBB1_1467
; %bb.1468:                             ;   in Loop: Header=BB1_1 Depth=1
	v_dual_mov_b32 v1, s8 :: v_dual_mov_b32 v2, s9
	s_add_co_i32 s8, s2, 0x2de
	s_mov_b32 s9, s3
	global_store_b64 v0, v[1:2], s[6:7] scope:SCOPE_SYS
.LBB1_1469:                             ;   Parent Loop BB1_1 Depth=1
                                        ; =>  This Inner Loop Header: Depth=2
	global_load_b64 v[1:2], v0, s[4:5] scope:SCOPE_SYS
	s_wait_loadcnt 0x0
	s_wait_alu 0xfffe
	v_cmp_ne_u64_e32 vcc_lo, s[8:9], v[1:2]
	s_cbranch_vccnz .LBB1_1469
; %bb.1470:                             ;   in Loop: Header=BB1_1 Depth=1
	v_dual_mov_b32 v1, s8 :: v_dual_mov_b32 v2, s9
	s_add_co_i32 s8, s2, 0x2df
	s_mov_b32 s9, s3
	global_store_b64 v0, v[1:2], s[6:7] scope:SCOPE_SYS
.LBB1_1471:                             ;   Parent Loop BB1_1 Depth=1
                                        ; =>  This Inner Loop Header: Depth=2
	global_load_b64 v[1:2], v0, s[4:5] scope:SCOPE_SYS
	s_wait_loadcnt 0x0
	s_wait_alu 0xfffe
	v_cmp_ne_u64_e32 vcc_lo, s[8:9], v[1:2]
	s_cbranch_vccnz .LBB1_1471
; %bb.1472:                             ;   in Loop: Header=BB1_1 Depth=1
	v_dual_mov_b32 v1, s8 :: v_dual_mov_b32 v2, s9
	s_add_co_i32 s8, s2, 0x2e0
	s_mov_b32 s9, s3
	global_store_b64 v0, v[1:2], s[6:7] scope:SCOPE_SYS
.LBB1_1473:                             ;   Parent Loop BB1_1 Depth=1
                                        ; =>  This Inner Loop Header: Depth=2
	global_load_b64 v[1:2], v0, s[4:5] scope:SCOPE_SYS
	s_wait_loadcnt 0x0
	s_wait_alu 0xfffe
	v_cmp_ne_u64_e32 vcc_lo, s[8:9], v[1:2]
	s_cbranch_vccnz .LBB1_1473
; %bb.1474:                             ;   in Loop: Header=BB1_1 Depth=1
	v_dual_mov_b32 v1, s8 :: v_dual_mov_b32 v2, s9
	s_add_co_i32 s8, s2, 0x2e1
	s_mov_b32 s9, s3
	global_store_b64 v0, v[1:2], s[6:7] scope:SCOPE_SYS
.LBB1_1475:                             ;   Parent Loop BB1_1 Depth=1
                                        ; =>  This Inner Loop Header: Depth=2
	global_load_b64 v[1:2], v0, s[4:5] scope:SCOPE_SYS
	s_wait_loadcnt 0x0
	s_wait_alu 0xfffe
	v_cmp_ne_u64_e32 vcc_lo, s[8:9], v[1:2]
	s_cbranch_vccnz .LBB1_1475
; %bb.1476:                             ;   in Loop: Header=BB1_1 Depth=1
	v_dual_mov_b32 v1, s8 :: v_dual_mov_b32 v2, s9
	s_add_co_i32 s8, s2, 0x2e2
	s_mov_b32 s9, s3
	global_store_b64 v0, v[1:2], s[6:7] scope:SCOPE_SYS
.LBB1_1477:                             ;   Parent Loop BB1_1 Depth=1
                                        ; =>  This Inner Loop Header: Depth=2
	global_load_b64 v[1:2], v0, s[4:5] scope:SCOPE_SYS
	s_wait_loadcnt 0x0
	s_wait_alu 0xfffe
	v_cmp_ne_u64_e32 vcc_lo, s[8:9], v[1:2]
	s_cbranch_vccnz .LBB1_1477
; %bb.1478:                             ;   in Loop: Header=BB1_1 Depth=1
	v_dual_mov_b32 v1, s8 :: v_dual_mov_b32 v2, s9
	s_add_co_i32 s8, s2, 0x2e3
	s_mov_b32 s9, s3
	global_store_b64 v0, v[1:2], s[6:7] scope:SCOPE_SYS
.LBB1_1479:                             ;   Parent Loop BB1_1 Depth=1
                                        ; =>  This Inner Loop Header: Depth=2
	global_load_b64 v[1:2], v0, s[4:5] scope:SCOPE_SYS
	s_wait_loadcnt 0x0
	s_wait_alu 0xfffe
	v_cmp_ne_u64_e32 vcc_lo, s[8:9], v[1:2]
	s_cbranch_vccnz .LBB1_1479
; %bb.1480:                             ;   in Loop: Header=BB1_1 Depth=1
	v_dual_mov_b32 v1, s8 :: v_dual_mov_b32 v2, s9
	s_add_co_i32 s8, s2, 0x2e4
	s_mov_b32 s9, s3
	global_store_b64 v0, v[1:2], s[6:7] scope:SCOPE_SYS
.LBB1_1481:                             ;   Parent Loop BB1_1 Depth=1
                                        ; =>  This Inner Loop Header: Depth=2
	global_load_b64 v[1:2], v0, s[4:5] scope:SCOPE_SYS
	s_wait_loadcnt 0x0
	s_wait_alu 0xfffe
	v_cmp_ne_u64_e32 vcc_lo, s[8:9], v[1:2]
	s_cbranch_vccnz .LBB1_1481
; %bb.1482:                             ;   in Loop: Header=BB1_1 Depth=1
	v_dual_mov_b32 v1, s8 :: v_dual_mov_b32 v2, s9
	s_add_co_i32 s8, s2, 0x2e5
	s_mov_b32 s9, s3
	global_store_b64 v0, v[1:2], s[6:7] scope:SCOPE_SYS
.LBB1_1483:                             ;   Parent Loop BB1_1 Depth=1
                                        ; =>  This Inner Loop Header: Depth=2
	global_load_b64 v[1:2], v0, s[4:5] scope:SCOPE_SYS
	s_wait_loadcnt 0x0
	s_wait_alu 0xfffe
	v_cmp_ne_u64_e32 vcc_lo, s[8:9], v[1:2]
	s_cbranch_vccnz .LBB1_1483
; %bb.1484:                             ;   in Loop: Header=BB1_1 Depth=1
	v_dual_mov_b32 v1, s8 :: v_dual_mov_b32 v2, s9
	s_add_co_i32 s8, s2, 0x2e6
	s_mov_b32 s9, s3
	global_store_b64 v0, v[1:2], s[6:7] scope:SCOPE_SYS
.LBB1_1485:                             ;   Parent Loop BB1_1 Depth=1
                                        ; =>  This Inner Loop Header: Depth=2
	global_load_b64 v[1:2], v0, s[4:5] scope:SCOPE_SYS
	s_wait_loadcnt 0x0
	s_wait_alu 0xfffe
	v_cmp_ne_u64_e32 vcc_lo, s[8:9], v[1:2]
	s_cbranch_vccnz .LBB1_1485
; %bb.1486:                             ;   in Loop: Header=BB1_1 Depth=1
	v_dual_mov_b32 v1, s8 :: v_dual_mov_b32 v2, s9
	s_add_co_i32 s8, s2, 0x2e7
	s_mov_b32 s9, s3
	global_store_b64 v0, v[1:2], s[6:7] scope:SCOPE_SYS
.LBB1_1487:                             ;   Parent Loop BB1_1 Depth=1
                                        ; =>  This Inner Loop Header: Depth=2
	global_load_b64 v[1:2], v0, s[4:5] scope:SCOPE_SYS
	s_wait_loadcnt 0x0
	s_wait_alu 0xfffe
	v_cmp_ne_u64_e32 vcc_lo, s[8:9], v[1:2]
	s_cbranch_vccnz .LBB1_1487
; %bb.1488:                             ;   in Loop: Header=BB1_1 Depth=1
	v_dual_mov_b32 v1, s8 :: v_dual_mov_b32 v2, s9
	s_add_co_i32 s8, s2, 0x2e8
	s_mov_b32 s9, s3
	global_store_b64 v0, v[1:2], s[6:7] scope:SCOPE_SYS
.LBB1_1489:                             ;   Parent Loop BB1_1 Depth=1
                                        ; =>  This Inner Loop Header: Depth=2
	global_load_b64 v[1:2], v0, s[4:5] scope:SCOPE_SYS
	s_wait_loadcnt 0x0
	s_wait_alu 0xfffe
	v_cmp_ne_u64_e32 vcc_lo, s[8:9], v[1:2]
	s_cbranch_vccnz .LBB1_1489
; %bb.1490:                             ;   in Loop: Header=BB1_1 Depth=1
	v_dual_mov_b32 v1, s8 :: v_dual_mov_b32 v2, s9
	s_add_co_i32 s8, s2, 0x2e9
	s_mov_b32 s9, s3
	global_store_b64 v0, v[1:2], s[6:7] scope:SCOPE_SYS
.LBB1_1491:                             ;   Parent Loop BB1_1 Depth=1
                                        ; =>  This Inner Loop Header: Depth=2
	global_load_b64 v[1:2], v0, s[4:5] scope:SCOPE_SYS
	s_wait_loadcnt 0x0
	s_wait_alu 0xfffe
	v_cmp_ne_u64_e32 vcc_lo, s[8:9], v[1:2]
	s_cbranch_vccnz .LBB1_1491
; %bb.1492:                             ;   in Loop: Header=BB1_1 Depth=1
	v_dual_mov_b32 v1, s8 :: v_dual_mov_b32 v2, s9
	s_add_co_i32 s8, s2, 0x2ea
	s_mov_b32 s9, s3
	global_store_b64 v0, v[1:2], s[6:7] scope:SCOPE_SYS
.LBB1_1493:                             ;   Parent Loop BB1_1 Depth=1
                                        ; =>  This Inner Loop Header: Depth=2
	global_load_b64 v[1:2], v0, s[4:5] scope:SCOPE_SYS
	s_wait_loadcnt 0x0
	s_wait_alu 0xfffe
	v_cmp_ne_u64_e32 vcc_lo, s[8:9], v[1:2]
	s_cbranch_vccnz .LBB1_1493
; %bb.1494:                             ;   in Loop: Header=BB1_1 Depth=1
	v_dual_mov_b32 v1, s8 :: v_dual_mov_b32 v2, s9
	s_add_co_i32 s8, s2, 0x2eb
	s_mov_b32 s9, s3
	global_store_b64 v0, v[1:2], s[6:7] scope:SCOPE_SYS
.LBB1_1495:                             ;   Parent Loop BB1_1 Depth=1
                                        ; =>  This Inner Loop Header: Depth=2
	global_load_b64 v[1:2], v0, s[4:5] scope:SCOPE_SYS
	s_wait_loadcnt 0x0
	s_wait_alu 0xfffe
	v_cmp_ne_u64_e32 vcc_lo, s[8:9], v[1:2]
	s_cbranch_vccnz .LBB1_1495
; %bb.1496:                             ;   in Loop: Header=BB1_1 Depth=1
	v_dual_mov_b32 v1, s8 :: v_dual_mov_b32 v2, s9
	s_add_co_i32 s8, s2, 0x2ec
	s_mov_b32 s9, s3
	global_store_b64 v0, v[1:2], s[6:7] scope:SCOPE_SYS
.LBB1_1497:                             ;   Parent Loop BB1_1 Depth=1
                                        ; =>  This Inner Loop Header: Depth=2
	global_load_b64 v[1:2], v0, s[4:5] scope:SCOPE_SYS
	s_wait_loadcnt 0x0
	s_wait_alu 0xfffe
	v_cmp_ne_u64_e32 vcc_lo, s[8:9], v[1:2]
	s_cbranch_vccnz .LBB1_1497
; %bb.1498:                             ;   in Loop: Header=BB1_1 Depth=1
	v_dual_mov_b32 v1, s8 :: v_dual_mov_b32 v2, s9
	s_add_co_i32 s8, s2, 0x2ed
	s_mov_b32 s9, s3
	global_store_b64 v0, v[1:2], s[6:7] scope:SCOPE_SYS
.LBB1_1499:                             ;   Parent Loop BB1_1 Depth=1
                                        ; =>  This Inner Loop Header: Depth=2
	global_load_b64 v[1:2], v0, s[4:5] scope:SCOPE_SYS
	s_wait_loadcnt 0x0
	s_wait_alu 0xfffe
	v_cmp_ne_u64_e32 vcc_lo, s[8:9], v[1:2]
	s_cbranch_vccnz .LBB1_1499
; %bb.1500:                             ;   in Loop: Header=BB1_1 Depth=1
	v_dual_mov_b32 v1, s8 :: v_dual_mov_b32 v2, s9
	s_add_co_i32 s8, s2, 0x2ee
	s_mov_b32 s9, s3
	global_store_b64 v0, v[1:2], s[6:7] scope:SCOPE_SYS
.LBB1_1501:                             ;   Parent Loop BB1_1 Depth=1
                                        ; =>  This Inner Loop Header: Depth=2
	global_load_b64 v[1:2], v0, s[4:5] scope:SCOPE_SYS
	s_wait_loadcnt 0x0
	s_wait_alu 0xfffe
	v_cmp_ne_u64_e32 vcc_lo, s[8:9], v[1:2]
	s_cbranch_vccnz .LBB1_1501
; %bb.1502:                             ;   in Loop: Header=BB1_1 Depth=1
	v_dual_mov_b32 v1, s8 :: v_dual_mov_b32 v2, s9
	s_add_co_i32 s8, s2, 0x2ef
	s_mov_b32 s9, s3
	global_store_b64 v0, v[1:2], s[6:7] scope:SCOPE_SYS
.LBB1_1503:                             ;   Parent Loop BB1_1 Depth=1
                                        ; =>  This Inner Loop Header: Depth=2
	global_load_b64 v[1:2], v0, s[4:5] scope:SCOPE_SYS
	s_wait_loadcnt 0x0
	s_wait_alu 0xfffe
	v_cmp_ne_u64_e32 vcc_lo, s[8:9], v[1:2]
	s_cbranch_vccnz .LBB1_1503
; %bb.1504:                             ;   in Loop: Header=BB1_1 Depth=1
	v_dual_mov_b32 v1, s8 :: v_dual_mov_b32 v2, s9
	s_add_co_i32 s8, s2, 0x2f0
	s_mov_b32 s9, s3
	global_store_b64 v0, v[1:2], s[6:7] scope:SCOPE_SYS
.LBB1_1505:                             ;   Parent Loop BB1_1 Depth=1
                                        ; =>  This Inner Loop Header: Depth=2
	global_load_b64 v[1:2], v0, s[4:5] scope:SCOPE_SYS
	s_wait_loadcnt 0x0
	s_wait_alu 0xfffe
	v_cmp_ne_u64_e32 vcc_lo, s[8:9], v[1:2]
	s_cbranch_vccnz .LBB1_1505
; %bb.1506:                             ;   in Loop: Header=BB1_1 Depth=1
	v_dual_mov_b32 v1, s8 :: v_dual_mov_b32 v2, s9
	s_add_co_i32 s8, s2, 0x2f1
	s_mov_b32 s9, s3
	global_store_b64 v0, v[1:2], s[6:7] scope:SCOPE_SYS
.LBB1_1507:                             ;   Parent Loop BB1_1 Depth=1
                                        ; =>  This Inner Loop Header: Depth=2
	global_load_b64 v[1:2], v0, s[4:5] scope:SCOPE_SYS
	s_wait_loadcnt 0x0
	s_wait_alu 0xfffe
	v_cmp_ne_u64_e32 vcc_lo, s[8:9], v[1:2]
	s_cbranch_vccnz .LBB1_1507
; %bb.1508:                             ;   in Loop: Header=BB1_1 Depth=1
	v_dual_mov_b32 v1, s8 :: v_dual_mov_b32 v2, s9
	s_add_co_i32 s8, s2, 0x2f2
	s_mov_b32 s9, s3
	global_store_b64 v0, v[1:2], s[6:7] scope:SCOPE_SYS
.LBB1_1509:                             ;   Parent Loop BB1_1 Depth=1
                                        ; =>  This Inner Loop Header: Depth=2
	global_load_b64 v[1:2], v0, s[4:5] scope:SCOPE_SYS
	s_wait_loadcnt 0x0
	s_wait_alu 0xfffe
	v_cmp_ne_u64_e32 vcc_lo, s[8:9], v[1:2]
	s_cbranch_vccnz .LBB1_1509
; %bb.1510:                             ;   in Loop: Header=BB1_1 Depth=1
	v_dual_mov_b32 v1, s8 :: v_dual_mov_b32 v2, s9
	s_add_co_i32 s8, s2, 0x2f3
	s_mov_b32 s9, s3
	global_store_b64 v0, v[1:2], s[6:7] scope:SCOPE_SYS
.LBB1_1511:                             ;   Parent Loop BB1_1 Depth=1
                                        ; =>  This Inner Loop Header: Depth=2
	global_load_b64 v[1:2], v0, s[4:5] scope:SCOPE_SYS
	s_wait_loadcnt 0x0
	s_wait_alu 0xfffe
	v_cmp_ne_u64_e32 vcc_lo, s[8:9], v[1:2]
	s_cbranch_vccnz .LBB1_1511
; %bb.1512:                             ;   in Loop: Header=BB1_1 Depth=1
	v_dual_mov_b32 v1, s8 :: v_dual_mov_b32 v2, s9
	s_add_co_i32 s8, s2, 0x2f4
	s_mov_b32 s9, s3
	global_store_b64 v0, v[1:2], s[6:7] scope:SCOPE_SYS
.LBB1_1513:                             ;   Parent Loop BB1_1 Depth=1
                                        ; =>  This Inner Loop Header: Depth=2
	global_load_b64 v[1:2], v0, s[4:5] scope:SCOPE_SYS
	s_wait_loadcnt 0x0
	s_wait_alu 0xfffe
	v_cmp_ne_u64_e32 vcc_lo, s[8:9], v[1:2]
	s_cbranch_vccnz .LBB1_1513
; %bb.1514:                             ;   in Loop: Header=BB1_1 Depth=1
	v_dual_mov_b32 v1, s8 :: v_dual_mov_b32 v2, s9
	s_add_co_i32 s8, s2, 0x2f5
	s_mov_b32 s9, s3
	global_store_b64 v0, v[1:2], s[6:7] scope:SCOPE_SYS
.LBB1_1515:                             ;   Parent Loop BB1_1 Depth=1
                                        ; =>  This Inner Loop Header: Depth=2
	global_load_b64 v[1:2], v0, s[4:5] scope:SCOPE_SYS
	s_wait_loadcnt 0x0
	s_wait_alu 0xfffe
	v_cmp_ne_u64_e32 vcc_lo, s[8:9], v[1:2]
	s_cbranch_vccnz .LBB1_1515
; %bb.1516:                             ;   in Loop: Header=BB1_1 Depth=1
	v_dual_mov_b32 v1, s8 :: v_dual_mov_b32 v2, s9
	s_add_co_i32 s8, s2, 0x2f6
	s_mov_b32 s9, s3
	global_store_b64 v0, v[1:2], s[6:7] scope:SCOPE_SYS
.LBB1_1517:                             ;   Parent Loop BB1_1 Depth=1
                                        ; =>  This Inner Loop Header: Depth=2
	global_load_b64 v[1:2], v0, s[4:5] scope:SCOPE_SYS
	s_wait_loadcnt 0x0
	s_wait_alu 0xfffe
	v_cmp_ne_u64_e32 vcc_lo, s[8:9], v[1:2]
	s_cbranch_vccnz .LBB1_1517
; %bb.1518:                             ;   in Loop: Header=BB1_1 Depth=1
	v_dual_mov_b32 v1, s8 :: v_dual_mov_b32 v2, s9
	s_add_co_i32 s8, s2, 0x2f7
	s_mov_b32 s9, s3
	global_store_b64 v0, v[1:2], s[6:7] scope:SCOPE_SYS
.LBB1_1519:                             ;   Parent Loop BB1_1 Depth=1
                                        ; =>  This Inner Loop Header: Depth=2
	global_load_b64 v[1:2], v0, s[4:5] scope:SCOPE_SYS
	s_wait_loadcnt 0x0
	s_wait_alu 0xfffe
	v_cmp_ne_u64_e32 vcc_lo, s[8:9], v[1:2]
	s_cbranch_vccnz .LBB1_1519
; %bb.1520:                             ;   in Loop: Header=BB1_1 Depth=1
	v_dual_mov_b32 v1, s8 :: v_dual_mov_b32 v2, s9
	s_add_co_i32 s8, s2, 0x2f8
	s_mov_b32 s9, s3
	global_store_b64 v0, v[1:2], s[6:7] scope:SCOPE_SYS
.LBB1_1521:                             ;   Parent Loop BB1_1 Depth=1
                                        ; =>  This Inner Loop Header: Depth=2
	global_load_b64 v[1:2], v0, s[4:5] scope:SCOPE_SYS
	s_wait_loadcnt 0x0
	s_wait_alu 0xfffe
	v_cmp_ne_u64_e32 vcc_lo, s[8:9], v[1:2]
	s_cbranch_vccnz .LBB1_1521
; %bb.1522:                             ;   in Loop: Header=BB1_1 Depth=1
	v_dual_mov_b32 v1, s8 :: v_dual_mov_b32 v2, s9
	s_add_co_i32 s8, s2, 0x2f9
	s_mov_b32 s9, s3
	global_store_b64 v0, v[1:2], s[6:7] scope:SCOPE_SYS
.LBB1_1523:                             ;   Parent Loop BB1_1 Depth=1
                                        ; =>  This Inner Loop Header: Depth=2
	global_load_b64 v[1:2], v0, s[4:5] scope:SCOPE_SYS
	s_wait_loadcnt 0x0
	s_wait_alu 0xfffe
	v_cmp_ne_u64_e32 vcc_lo, s[8:9], v[1:2]
	s_cbranch_vccnz .LBB1_1523
; %bb.1524:                             ;   in Loop: Header=BB1_1 Depth=1
	v_dual_mov_b32 v1, s8 :: v_dual_mov_b32 v2, s9
	s_add_co_i32 s8, s2, 0x2fa
	s_mov_b32 s9, s3
	global_store_b64 v0, v[1:2], s[6:7] scope:SCOPE_SYS
.LBB1_1525:                             ;   Parent Loop BB1_1 Depth=1
                                        ; =>  This Inner Loop Header: Depth=2
	global_load_b64 v[1:2], v0, s[4:5] scope:SCOPE_SYS
	s_wait_loadcnt 0x0
	s_wait_alu 0xfffe
	v_cmp_ne_u64_e32 vcc_lo, s[8:9], v[1:2]
	s_cbranch_vccnz .LBB1_1525
; %bb.1526:                             ;   in Loop: Header=BB1_1 Depth=1
	v_dual_mov_b32 v1, s8 :: v_dual_mov_b32 v2, s9
	s_add_co_i32 s8, s2, 0x2fb
	s_mov_b32 s9, s3
	global_store_b64 v0, v[1:2], s[6:7] scope:SCOPE_SYS
.LBB1_1527:                             ;   Parent Loop BB1_1 Depth=1
                                        ; =>  This Inner Loop Header: Depth=2
	global_load_b64 v[1:2], v0, s[4:5] scope:SCOPE_SYS
	s_wait_loadcnt 0x0
	s_wait_alu 0xfffe
	v_cmp_ne_u64_e32 vcc_lo, s[8:9], v[1:2]
	s_cbranch_vccnz .LBB1_1527
; %bb.1528:                             ;   in Loop: Header=BB1_1 Depth=1
	v_dual_mov_b32 v1, s8 :: v_dual_mov_b32 v2, s9
	s_add_co_i32 s8, s2, 0x2fc
	s_mov_b32 s9, s3
	global_store_b64 v0, v[1:2], s[6:7] scope:SCOPE_SYS
.LBB1_1529:                             ;   Parent Loop BB1_1 Depth=1
                                        ; =>  This Inner Loop Header: Depth=2
	global_load_b64 v[1:2], v0, s[4:5] scope:SCOPE_SYS
	s_wait_loadcnt 0x0
	s_wait_alu 0xfffe
	v_cmp_ne_u64_e32 vcc_lo, s[8:9], v[1:2]
	s_cbranch_vccnz .LBB1_1529
; %bb.1530:                             ;   in Loop: Header=BB1_1 Depth=1
	v_dual_mov_b32 v1, s8 :: v_dual_mov_b32 v2, s9
	s_add_co_i32 s8, s2, 0x2fd
	s_mov_b32 s9, s3
	global_store_b64 v0, v[1:2], s[6:7] scope:SCOPE_SYS
.LBB1_1531:                             ;   Parent Loop BB1_1 Depth=1
                                        ; =>  This Inner Loop Header: Depth=2
	global_load_b64 v[1:2], v0, s[4:5] scope:SCOPE_SYS
	s_wait_loadcnt 0x0
	s_wait_alu 0xfffe
	v_cmp_ne_u64_e32 vcc_lo, s[8:9], v[1:2]
	s_cbranch_vccnz .LBB1_1531
; %bb.1532:                             ;   in Loop: Header=BB1_1 Depth=1
	v_dual_mov_b32 v1, s8 :: v_dual_mov_b32 v2, s9
	s_add_co_i32 s8, s2, 0x2fe
	s_mov_b32 s9, s3
	global_store_b64 v0, v[1:2], s[6:7] scope:SCOPE_SYS
.LBB1_1533:                             ;   Parent Loop BB1_1 Depth=1
                                        ; =>  This Inner Loop Header: Depth=2
	global_load_b64 v[1:2], v0, s[4:5] scope:SCOPE_SYS
	s_wait_loadcnt 0x0
	s_wait_alu 0xfffe
	v_cmp_ne_u64_e32 vcc_lo, s[8:9], v[1:2]
	s_cbranch_vccnz .LBB1_1533
; %bb.1534:                             ;   in Loop: Header=BB1_1 Depth=1
	v_dual_mov_b32 v1, s8 :: v_dual_mov_b32 v2, s9
	s_add_co_i32 s8, s2, 0x2ff
	s_mov_b32 s9, s3
	global_store_b64 v0, v[1:2], s[6:7] scope:SCOPE_SYS
.LBB1_1535:                             ;   Parent Loop BB1_1 Depth=1
                                        ; =>  This Inner Loop Header: Depth=2
	global_load_b64 v[1:2], v0, s[4:5] scope:SCOPE_SYS
	s_wait_loadcnt 0x0
	s_wait_alu 0xfffe
	v_cmp_ne_u64_e32 vcc_lo, s[8:9], v[1:2]
	s_cbranch_vccnz .LBB1_1535
; %bb.1536:                             ;   in Loop: Header=BB1_1 Depth=1
	v_dual_mov_b32 v1, s8 :: v_dual_mov_b32 v2, s9
	s_add_co_i32 s8, s2, 0x300
	s_mov_b32 s9, s3
	global_store_b64 v0, v[1:2], s[6:7] scope:SCOPE_SYS
.LBB1_1537:                             ;   Parent Loop BB1_1 Depth=1
                                        ; =>  This Inner Loop Header: Depth=2
	global_load_b64 v[1:2], v0, s[4:5] scope:SCOPE_SYS
	s_wait_loadcnt 0x0
	s_wait_alu 0xfffe
	v_cmp_ne_u64_e32 vcc_lo, s[8:9], v[1:2]
	s_cbranch_vccnz .LBB1_1537
; %bb.1538:                             ;   in Loop: Header=BB1_1 Depth=1
	v_dual_mov_b32 v1, s8 :: v_dual_mov_b32 v2, s9
	s_add_co_i32 s8, s2, 0x301
	s_mov_b32 s9, s3
	global_store_b64 v0, v[1:2], s[6:7] scope:SCOPE_SYS
.LBB1_1539:                             ;   Parent Loop BB1_1 Depth=1
                                        ; =>  This Inner Loop Header: Depth=2
	global_load_b64 v[1:2], v0, s[4:5] scope:SCOPE_SYS
	s_wait_loadcnt 0x0
	s_wait_alu 0xfffe
	v_cmp_ne_u64_e32 vcc_lo, s[8:9], v[1:2]
	s_cbranch_vccnz .LBB1_1539
; %bb.1540:                             ;   in Loop: Header=BB1_1 Depth=1
	v_dual_mov_b32 v1, s8 :: v_dual_mov_b32 v2, s9
	s_add_co_i32 s8, s2, 0x302
	s_mov_b32 s9, s3
	global_store_b64 v0, v[1:2], s[6:7] scope:SCOPE_SYS
.LBB1_1541:                             ;   Parent Loop BB1_1 Depth=1
                                        ; =>  This Inner Loop Header: Depth=2
	global_load_b64 v[1:2], v0, s[4:5] scope:SCOPE_SYS
	s_wait_loadcnt 0x0
	s_wait_alu 0xfffe
	v_cmp_ne_u64_e32 vcc_lo, s[8:9], v[1:2]
	s_cbranch_vccnz .LBB1_1541
; %bb.1542:                             ;   in Loop: Header=BB1_1 Depth=1
	v_dual_mov_b32 v1, s8 :: v_dual_mov_b32 v2, s9
	s_add_co_i32 s8, s2, 0x303
	s_mov_b32 s9, s3
	global_store_b64 v0, v[1:2], s[6:7] scope:SCOPE_SYS
.LBB1_1543:                             ;   Parent Loop BB1_1 Depth=1
                                        ; =>  This Inner Loop Header: Depth=2
	global_load_b64 v[1:2], v0, s[4:5] scope:SCOPE_SYS
	s_wait_loadcnt 0x0
	s_wait_alu 0xfffe
	v_cmp_ne_u64_e32 vcc_lo, s[8:9], v[1:2]
	s_cbranch_vccnz .LBB1_1543
; %bb.1544:                             ;   in Loop: Header=BB1_1 Depth=1
	v_dual_mov_b32 v1, s8 :: v_dual_mov_b32 v2, s9
	s_add_co_i32 s8, s2, 0x304
	s_mov_b32 s9, s3
	global_store_b64 v0, v[1:2], s[6:7] scope:SCOPE_SYS
.LBB1_1545:                             ;   Parent Loop BB1_1 Depth=1
                                        ; =>  This Inner Loop Header: Depth=2
	global_load_b64 v[1:2], v0, s[4:5] scope:SCOPE_SYS
	s_wait_loadcnt 0x0
	s_wait_alu 0xfffe
	v_cmp_ne_u64_e32 vcc_lo, s[8:9], v[1:2]
	s_cbranch_vccnz .LBB1_1545
; %bb.1546:                             ;   in Loop: Header=BB1_1 Depth=1
	v_dual_mov_b32 v1, s8 :: v_dual_mov_b32 v2, s9
	s_add_co_i32 s8, s2, 0x305
	s_mov_b32 s9, s3
	global_store_b64 v0, v[1:2], s[6:7] scope:SCOPE_SYS
.LBB1_1547:                             ;   Parent Loop BB1_1 Depth=1
                                        ; =>  This Inner Loop Header: Depth=2
	global_load_b64 v[1:2], v0, s[4:5] scope:SCOPE_SYS
	s_wait_loadcnt 0x0
	s_wait_alu 0xfffe
	v_cmp_ne_u64_e32 vcc_lo, s[8:9], v[1:2]
	s_cbranch_vccnz .LBB1_1547
; %bb.1548:                             ;   in Loop: Header=BB1_1 Depth=1
	v_dual_mov_b32 v1, s8 :: v_dual_mov_b32 v2, s9
	s_add_co_i32 s8, s2, 0x306
	s_mov_b32 s9, s3
	global_store_b64 v0, v[1:2], s[6:7] scope:SCOPE_SYS
.LBB1_1549:                             ;   Parent Loop BB1_1 Depth=1
                                        ; =>  This Inner Loop Header: Depth=2
	global_load_b64 v[1:2], v0, s[4:5] scope:SCOPE_SYS
	s_wait_loadcnt 0x0
	s_wait_alu 0xfffe
	v_cmp_ne_u64_e32 vcc_lo, s[8:9], v[1:2]
	s_cbranch_vccnz .LBB1_1549
; %bb.1550:                             ;   in Loop: Header=BB1_1 Depth=1
	v_dual_mov_b32 v1, s8 :: v_dual_mov_b32 v2, s9
	s_add_co_i32 s8, s2, 0x307
	s_mov_b32 s9, s3
	global_store_b64 v0, v[1:2], s[6:7] scope:SCOPE_SYS
.LBB1_1551:                             ;   Parent Loop BB1_1 Depth=1
                                        ; =>  This Inner Loop Header: Depth=2
	global_load_b64 v[1:2], v0, s[4:5] scope:SCOPE_SYS
	s_wait_loadcnt 0x0
	s_wait_alu 0xfffe
	v_cmp_ne_u64_e32 vcc_lo, s[8:9], v[1:2]
	s_cbranch_vccnz .LBB1_1551
; %bb.1552:                             ;   in Loop: Header=BB1_1 Depth=1
	v_dual_mov_b32 v1, s8 :: v_dual_mov_b32 v2, s9
	s_add_co_i32 s8, s2, 0x308
	s_mov_b32 s9, s3
	global_store_b64 v0, v[1:2], s[6:7] scope:SCOPE_SYS
.LBB1_1553:                             ;   Parent Loop BB1_1 Depth=1
                                        ; =>  This Inner Loop Header: Depth=2
	global_load_b64 v[1:2], v0, s[4:5] scope:SCOPE_SYS
	s_wait_loadcnt 0x0
	s_wait_alu 0xfffe
	v_cmp_ne_u64_e32 vcc_lo, s[8:9], v[1:2]
	s_cbranch_vccnz .LBB1_1553
; %bb.1554:                             ;   in Loop: Header=BB1_1 Depth=1
	v_dual_mov_b32 v1, s8 :: v_dual_mov_b32 v2, s9
	s_add_co_i32 s8, s2, 0x309
	s_mov_b32 s9, s3
	global_store_b64 v0, v[1:2], s[6:7] scope:SCOPE_SYS
.LBB1_1555:                             ;   Parent Loop BB1_1 Depth=1
                                        ; =>  This Inner Loop Header: Depth=2
	global_load_b64 v[1:2], v0, s[4:5] scope:SCOPE_SYS
	s_wait_loadcnt 0x0
	s_wait_alu 0xfffe
	v_cmp_ne_u64_e32 vcc_lo, s[8:9], v[1:2]
	s_cbranch_vccnz .LBB1_1555
; %bb.1556:                             ;   in Loop: Header=BB1_1 Depth=1
	v_dual_mov_b32 v1, s8 :: v_dual_mov_b32 v2, s9
	s_add_co_i32 s8, s2, 0x30a
	s_mov_b32 s9, s3
	global_store_b64 v0, v[1:2], s[6:7] scope:SCOPE_SYS
.LBB1_1557:                             ;   Parent Loop BB1_1 Depth=1
                                        ; =>  This Inner Loop Header: Depth=2
	global_load_b64 v[1:2], v0, s[4:5] scope:SCOPE_SYS
	s_wait_loadcnt 0x0
	s_wait_alu 0xfffe
	v_cmp_ne_u64_e32 vcc_lo, s[8:9], v[1:2]
	s_cbranch_vccnz .LBB1_1557
; %bb.1558:                             ;   in Loop: Header=BB1_1 Depth=1
	v_dual_mov_b32 v1, s8 :: v_dual_mov_b32 v2, s9
	s_add_co_i32 s8, s2, 0x30b
	s_mov_b32 s9, s3
	global_store_b64 v0, v[1:2], s[6:7] scope:SCOPE_SYS
.LBB1_1559:                             ;   Parent Loop BB1_1 Depth=1
                                        ; =>  This Inner Loop Header: Depth=2
	global_load_b64 v[1:2], v0, s[4:5] scope:SCOPE_SYS
	s_wait_loadcnt 0x0
	s_wait_alu 0xfffe
	v_cmp_ne_u64_e32 vcc_lo, s[8:9], v[1:2]
	s_cbranch_vccnz .LBB1_1559
; %bb.1560:                             ;   in Loop: Header=BB1_1 Depth=1
	v_dual_mov_b32 v1, s8 :: v_dual_mov_b32 v2, s9
	s_add_co_i32 s8, s2, 0x30c
	s_mov_b32 s9, s3
	global_store_b64 v0, v[1:2], s[6:7] scope:SCOPE_SYS
.LBB1_1561:                             ;   Parent Loop BB1_1 Depth=1
                                        ; =>  This Inner Loop Header: Depth=2
	global_load_b64 v[1:2], v0, s[4:5] scope:SCOPE_SYS
	s_wait_loadcnt 0x0
	s_wait_alu 0xfffe
	v_cmp_ne_u64_e32 vcc_lo, s[8:9], v[1:2]
	s_cbranch_vccnz .LBB1_1561
; %bb.1562:                             ;   in Loop: Header=BB1_1 Depth=1
	v_dual_mov_b32 v1, s8 :: v_dual_mov_b32 v2, s9
	s_add_co_i32 s8, s2, 0x30d
	s_mov_b32 s9, s3
	global_store_b64 v0, v[1:2], s[6:7] scope:SCOPE_SYS
.LBB1_1563:                             ;   Parent Loop BB1_1 Depth=1
                                        ; =>  This Inner Loop Header: Depth=2
	global_load_b64 v[1:2], v0, s[4:5] scope:SCOPE_SYS
	s_wait_loadcnt 0x0
	s_wait_alu 0xfffe
	v_cmp_ne_u64_e32 vcc_lo, s[8:9], v[1:2]
	s_cbranch_vccnz .LBB1_1563
; %bb.1564:                             ;   in Loop: Header=BB1_1 Depth=1
	v_dual_mov_b32 v1, s8 :: v_dual_mov_b32 v2, s9
	s_add_co_i32 s8, s2, 0x30e
	s_mov_b32 s9, s3
	global_store_b64 v0, v[1:2], s[6:7] scope:SCOPE_SYS
.LBB1_1565:                             ;   Parent Loop BB1_1 Depth=1
                                        ; =>  This Inner Loop Header: Depth=2
	global_load_b64 v[1:2], v0, s[4:5] scope:SCOPE_SYS
	s_wait_loadcnt 0x0
	s_wait_alu 0xfffe
	v_cmp_ne_u64_e32 vcc_lo, s[8:9], v[1:2]
	s_cbranch_vccnz .LBB1_1565
; %bb.1566:                             ;   in Loop: Header=BB1_1 Depth=1
	v_dual_mov_b32 v1, s8 :: v_dual_mov_b32 v2, s9
	s_add_co_i32 s8, s2, 0x30f
	s_mov_b32 s9, s3
	global_store_b64 v0, v[1:2], s[6:7] scope:SCOPE_SYS
.LBB1_1567:                             ;   Parent Loop BB1_1 Depth=1
                                        ; =>  This Inner Loop Header: Depth=2
	global_load_b64 v[1:2], v0, s[4:5] scope:SCOPE_SYS
	s_wait_loadcnt 0x0
	s_wait_alu 0xfffe
	v_cmp_ne_u64_e32 vcc_lo, s[8:9], v[1:2]
	s_cbranch_vccnz .LBB1_1567
; %bb.1568:                             ;   in Loop: Header=BB1_1 Depth=1
	v_dual_mov_b32 v1, s8 :: v_dual_mov_b32 v2, s9
	s_add_co_i32 s8, s2, 0x310
	s_mov_b32 s9, s3
	global_store_b64 v0, v[1:2], s[6:7] scope:SCOPE_SYS
.LBB1_1569:                             ;   Parent Loop BB1_1 Depth=1
                                        ; =>  This Inner Loop Header: Depth=2
	global_load_b64 v[1:2], v0, s[4:5] scope:SCOPE_SYS
	s_wait_loadcnt 0x0
	s_wait_alu 0xfffe
	v_cmp_ne_u64_e32 vcc_lo, s[8:9], v[1:2]
	s_cbranch_vccnz .LBB1_1569
; %bb.1570:                             ;   in Loop: Header=BB1_1 Depth=1
	v_dual_mov_b32 v1, s8 :: v_dual_mov_b32 v2, s9
	s_add_co_i32 s8, s2, 0x311
	s_mov_b32 s9, s3
	global_store_b64 v0, v[1:2], s[6:7] scope:SCOPE_SYS
.LBB1_1571:                             ;   Parent Loop BB1_1 Depth=1
                                        ; =>  This Inner Loop Header: Depth=2
	global_load_b64 v[1:2], v0, s[4:5] scope:SCOPE_SYS
	s_wait_loadcnt 0x0
	s_wait_alu 0xfffe
	v_cmp_ne_u64_e32 vcc_lo, s[8:9], v[1:2]
	s_cbranch_vccnz .LBB1_1571
; %bb.1572:                             ;   in Loop: Header=BB1_1 Depth=1
	v_dual_mov_b32 v1, s8 :: v_dual_mov_b32 v2, s9
	s_add_co_i32 s8, s2, 0x312
	s_mov_b32 s9, s3
	global_store_b64 v0, v[1:2], s[6:7] scope:SCOPE_SYS
.LBB1_1573:                             ;   Parent Loop BB1_1 Depth=1
                                        ; =>  This Inner Loop Header: Depth=2
	global_load_b64 v[1:2], v0, s[4:5] scope:SCOPE_SYS
	s_wait_loadcnt 0x0
	s_wait_alu 0xfffe
	v_cmp_ne_u64_e32 vcc_lo, s[8:9], v[1:2]
	s_cbranch_vccnz .LBB1_1573
; %bb.1574:                             ;   in Loop: Header=BB1_1 Depth=1
	v_dual_mov_b32 v1, s8 :: v_dual_mov_b32 v2, s9
	s_add_co_i32 s8, s2, 0x313
	s_mov_b32 s9, s3
	global_store_b64 v0, v[1:2], s[6:7] scope:SCOPE_SYS
.LBB1_1575:                             ;   Parent Loop BB1_1 Depth=1
                                        ; =>  This Inner Loop Header: Depth=2
	global_load_b64 v[1:2], v0, s[4:5] scope:SCOPE_SYS
	s_wait_loadcnt 0x0
	s_wait_alu 0xfffe
	v_cmp_ne_u64_e32 vcc_lo, s[8:9], v[1:2]
	s_cbranch_vccnz .LBB1_1575
; %bb.1576:                             ;   in Loop: Header=BB1_1 Depth=1
	v_dual_mov_b32 v1, s8 :: v_dual_mov_b32 v2, s9
	s_add_co_i32 s8, s2, 0x314
	s_mov_b32 s9, s3
	global_store_b64 v0, v[1:2], s[6:7] scope:SCOPE_SYS
.LBB1_1577:                             ;   Parent Loop BB1_1 Depth=1
                                        ; =>  This Inner Loop Header: Depth=2
	global_load_b64 v[1:2], v0, s[4:5] scope:SCOPE_SYS
	s_wait_loadcnt 0x0
	s_wait_alu 0xfffe
	v_cmp_ne_u64_e32 vcc_lo, s[8:9], v[1:2]
	s_cbranch_vccnz .LBB1_1577
; %bb.1578:                             ;   in Loop: Header=BB1_1 Depth=1
	v_dual_mov_b32 v1, s8 :: v_dual_mov_b32 v2, s9
	s_add_co_i32 s8, s2, 0x315
	s_mov_b32 s9, s3
	global_store_b64 v0, v[1:2], s[6:7] scope:SCOPE_SYS
.LBB1_1579:                             ;   Parent Loop BB1_1 Depth=1
                                        ; =>  This Inner Loop Header: Depth=2
	global_load_b64 v[1:2], v0, s[4:5] scope:SCOPE_SYS
	s_wait_loadcnt 0x0
	s_wait_alu 0xfffe
	v_cmp_ne_u64_e32 vcc_lo, s[8:9], v[1:2]
	s_cbranch_vccnz .LBB1_1579
; %bb.1580:                             ;   in Loop: Header=BB1_1 Depth=1
	v_dual_mov_b32 v1, s8 :: v_dual_mov_b32 v2, s9
	s_add_co_i32 s8, s2, 0x316
	s_mov_b32 s9, s3
	global_store_b64 v0, v[1:2], s[6:7] scope:SCOPE_SYS
.LBB1_1581:                             ;   Parent Loop BB1_1 Depth=1
                                        ; =>  This Inner Loop Header: Depth=2
	global_load_b64 v[1:2], v0, s[4:5] scope:SCOPE_SYS
	s_wait_loadcnt 0x0
	s_wait_alu 0xfffe
	v_cmp_ne_u64_e32 vcc_lo, s[8:9], v[1:2]
	s_cbranch_vccnz .LBB1_1581
; %bb.1582:                             ;   in Loop: Header=BB1_1 Depth=1
	v_dual_mov_b32 v1, s8 :: v_dual_mov_b32 v2, s9
	s_add_co_i32 s8, s2, 0x317
	s_mov_b32 s9, s3
	global_store_b64 v0, v[1:2], s[6:7] scope:SCOPE_SYS
.LBB1_1583:                             ;   Parent Loop BB1_1 Depth=1
                                        ; =>  This Inner Loop Header: Depth=2
	global_load_b64 v[1:2], v0, s[4:5] scope:SCOPE_SYS
	s_wait_loadcnt 0x0
	s_wait_alu 0xfffe
	v_cmp_ne_u64_e32 vcc_lo, s[8:9], v[1:2]
	s_cbranch_vccnz .LBB1_1583
; %bb.1584:                             ;   in Loop: Header=BB1_1 Depth=1
	v_dual_mov_b32 v1, s8 :: v_dual_mov_b32 v2, s9
	s_add_co_i32 s8, s2, 0x318
	s_mov_b32 s9, s3
	global_store_b64 v0, v[1:2], s[6:7] scope:SCOPE_SYS
.LBB1_1585:                             ;   Parent Loop BB1_1 Depth=1
                                        ; =>  This Inner Loop Header: Depth=2
	global_load_b64 v[1:2], v0, s[4:5] scope:SCOPE_SYS
	s_wait_loadcnt 0x0
	s_wait_alu 0xfffe
	v_cmp_ne_u64_e32 vcc_lo, s[8:9], v[1:2]
	s_cbranch_vccnz .LBB1_1585
; %bb.1586:                             ;   in Loop: Header=BB1_1 Depth=1
	v_dual_mov_b32 v1, s8 :: v_dual_mov_b32 v2, s9
	s_add_co_i32 s8, s2, 0x319
	s_mov_b32 s9, s3
	global_store_b64 v0, v[1:2], s[6:7] scope:SCOPE_SYS
.LBB1_1587:                             ;   Parent Loop BB1_1 Depth=1
                                        ; =>  This Inner Loop Header: Depth=2
	global_load_b64 v[1:2], v0, s[4:5] scope:SCOPE_SYS
	s_wait_loadcnt 0x0
	s_wait_alu 0xfffe
	v_cmp_ne_u64_e32 vcc_lo, s[8:9], v[1:2]
	s_cbranch_vccnz .LBB1_1587
; %bb.1588:                             ;   in Loop: Header=BB1_1 Depth=1
	v_dual_mov_b32 v1, s8 :: v_dual_mov_b32 v2, s9
	s_add_co_i32 s8, s2, 0x31a
	s_mov_b32 s9, s3
	global_store_b64 v0, v[1:2], s[6:7] scope:SCOPE_SYS
.LBB1_1589:                             ;   Parent Loop BB1_1 Depth=1
                                        ; =>  This Inner Loop Header: Depth=2
	global_load_b64 v[1:2], v0, s[4:5] scope:SCOPE_SYS
	s_wait_loadcnt 0x0
	s_wait_alu 0xfffe
	v_cmp_ne_u64_e32 vcc_lo, s[8:9], v[1:2]
	s_cbranch_vccnz .LBB1_1589
; %bb.1590:                             ;   in Loop: Header=BB1_1 Depth=1
	v_dual_mov_b32 v1, s8 :: v_dual_mov_b32 v2, s9
	s_add_co_i32 s8, s2, 0x31b
	s_mov_b32 s9, s3
	global_store_b64 v0, v[1:2], s[6:7] scope:SCOPE_SYS
.LBB1_1591:                             ;   Parent Loop BB1_1 Depth=1
                                        ; =>  This Inner Loop Header: Depth=2
	global_load_b64 v[1:2], v0, s[4:5] scope:SCOPE_SYS
	s_wait_loadcnt 0x0
	s_wait_alu 0xfffe
	v_cmp_ne_u64_e32 vcc_lo, s[8:9], v[1:2]
	s_cbranch_vccnz .LBB1_1591
; %bb.1592:                             ;   in Loop: Header=BB1_1 Depth=1
	v_dual_mov_b32 v1, s8 :: v_dual_mov_b32 v2, s9
	s_add_co_i32 s8, s2, 0x31c
	s_mov_b32 s9, s3
	global_store_b64 v0, v[1:2], s[6:7] scope:SCOPE_SYS
.LBB1_1593:                             ;   Parent Loop BB1_1 Depth=1
                                        ; =>  This Inner Loop Header: Depth=2
	global_load_b64 v[1:2], v0, s[4:5] scope:SCOPE_SYS
	s_wait_loadcnt 0x0
	s_wait_alu 0xfffe
	v_cmp_ne_u64_e32 vcc_lo, s[8:9], v[1:2]
	s_cbranch_vccnz .LBB1_1593
; %bb.1594:                             ;   in Loop: Header=BB1_1 Depth=1
	v_dual_mov_b32 v1, s8 :: v_dual_mov_b32 v2, s9
	s_add_co_i32 s8, s2, 0x31d
	s_mov_b32 s9, s3
	global_store_b64 v0, v[1:2], s[6:7] scope:SCOPE_SYS
.LBB1_1595:                             ;   Parent Loop BB1_1 Depth=1
                                        ; =>  This Inner Loop Header: Depth=2
	global_load_b64 v[1:2], v0, s[4:5] scope:SCOPE_SYS
	s_wait_loadcnt 0x0
	s_wait_alu 0xfffe
	v_cmp_ne_u64_e32 vcc_lo, s[8:9], v[1:2]
	s_cbranch_vccnz .LBB1_1595
; %bb.1596:                             ;   in Loop: Header=BB1_1 Depth=1
	v_dual_mov_b32 v1, s8 :: v_dual_mov_b32 v2, s9
	s_add_co_i32 s8, s2, 0x31e
	s_mov_b32 s9, s3
	global_store_b64 v0, v[1:2], s[6:7] scope:SCOPE_SYS
.LBB1_1597:                             ;   Parent Loop BB1_1 Depth=1
                                        ; =>  This Inner Loop Header: Depth=2
	global_load_b64 v[1:2], v0, s[4:5] scope:SCOPE_SYS
	s_wait_loadcnt 0x0
	s_wait_alu 0xfffe
	v_cmp_ne_u64_e32 vcc_lo, s[8:9], v[1:2]
	s_cbranch_vccnz .LBB1_1597
; %bb.1598:                             ;   in Loop: Header=BB1_1 Depth=1
	v_dual_mov_b32 v1, s8 :: v_dual_mov_b32 v2, s9
	s_add_co_i32 s8, s2, 0x31f
	s_mov_b32 s9, s3
	global_store_b64 v0, v[1:2], s[6:7] scope:SCOPE_SYS
.LBB1_1599:                             ;   Parent Loop BB1_1 Depth=1
                                        ; =>  This Inner Loop Header: Depth=2
	global_load_b64 v[1:2], v0, s[4:5] scope:SCOPE_SYS
	s_wait_loadcnt 0x0
	s_wait_alu 0xfffe
	v_cmp_ne_u64_e32 vcc_lo, s[8:9], v[1:2]
	s_cbranch_vccnz .LBB1_1599
; %bb.1600:                             ;   in Loop: Header=BB1_1 Depth=1
	v_dual_mov_b32 v1, s8 :: v_dual_mov_b32 v2, s9
	s_add_co_i32 s8, s2, 0x320
	s_mov_b32 s9, s3
	global_store_b64 v0, v[1:2], s[6:7] scope:SCOPE_SYS
.LBB1_1601:                             ;   Parent Loop BB1_1 Depth=1
                                        ; =>  This Inner Loop Header: Depth=2
	global_load_b64 v[1:2], v0, s[4:5] scope:SCOPE_SYS
	s_wait_loadcnt 0x0
	s_wait_alu 0xfffe
	v_cmp_ne_u64_e32 vcc_lo, s[8:9], v[1:2]
	s_cbranch_vccnz .LBB1_1601
; %bb.1602:                             ;   in Loop: Header=BB1_1 Depth=1
	v_dual_mov_b32 v1, s8 :: v_dual_mov_b32 v2, s9
	s_add_co_i32 s8, s2, 0x321
	s_mov_b32 s9, s3
	global_store_b64 v0, v[1:2], s[6:7] scope:SCOPE_SYS
.LBB1_1603:                             ;   Parent Loop BB1_1 Depth=1
                                        ; =>  This Inner Loop Header: Depth=2
	global_load_b64 v[1:2], v0, s[4:5] scope:SCOPE_SYS
	s_wait_loadcnt 0x0
	s_wait_alu 0xfffe
	v_cmp_ne_u64_e32 vcc_lo, s[8:9], v[1:2]
	s_cbranch_vccnz .LBB1_1603
; %bb.1604:                             ;   in Loop: Header=BB1_1 Depth=1
	v_dual_mov_b32 v1, s8 :: v_dual_mov_b32 v2, s9
	s_add_co_i32 s8, s2, 0x322
	s_mov_b32 s9, s3
	global_store_b64 v0, v[1:2], s[6:7] scope:SCOPE_SYS
.LBB1_1605:                             ;   Parent Loop BB1_1 Depth=1
                                        ; =>  This Inner Loop Header: Depth=2
	global_load_b64 v[1:2], v0, s[4:5] scope:SCOPE_SYS
	s_wait_loadcnt 0x0
	s_wait_alu 0xfffe
	v_cmp_ne_u64_e32 vcc_lo, s[8:9], v[1:2]
	s_cbranch_vccnz .LBB1_1605
; %bb.1606:                             ;   in Loop: Header=BB1_1 Depth=1
	v_dual_mov_b32 v1, s8 :: v_dual_mov_b32 v2, s9
	s_add_co_i32 s8, s2, 0x323
	s_mov_b32 s9, s3
	global_store_b64 v0, v[1:2], s[6:7] scope:SCOPE_SYS
.LBB1_1607:                             ;   Parent Loop BB1_1 Depth=1
                                        ; =>  This Inner Loop Header: Depth=2
	global_load_b64 v[1:2], v0, s[4:5] scope:SCOPE_SYS
	s_wait_loadcnt 0x0
	s_wait_alu 0xfffe
	v_cmp_ne_u64_e32 vcc_lo, s[8:9], v[1:2]
	s_cbranch_vccnz .LBB1_1607
; %bb.1608:                             ;   in Loop: Header=BB1_1 Depth=1
	v_dual_mov_b32 v1, s8 :: v_dual_mov_b32 v2, s9
	s_add_co_i32 s8, s2, 0x324
	s_mov_b32 s9, s3
	global_store_b64 v0, v[1:2], s[6:7] scope:SCOPE_SYS
.LBB1_1609:                             ;   Parent Loop BB1_1 Depth=1
                                        ; =>  This Inner Loop Header: Depth=2
	global_load_b64 v[1:2], v0, s[4:5] scope:SCOPE_SYS
	s_wait_loadcnt 0x0
	s_wait_alu 0xfffe
	v_cmp_ne_u64_e32 vcc_lo, s[8:9], v[1:2]
	s_cbranch_vccnz .LBB1_1609
; %bb.1610:                             ;   in Loop: Header=BB1_1 Depth=1
	v_dual_mov_b32 v1, s8 :: v_dual_mov_b32 v2, s9
	s_add_co_i32 s8, s2, 0x325
	s_mov_b32 s9, s3
	global_store_b64 v0, v[1:2], s[6:7] scope:SCOPE_SYS
.LBB1_1611:                             ;   Parent Loop BB1_1 Depth=1
                                        ; =>  This Inner Loop Header: Depth=2
	global_load_b64 v[1:2], v0, s[4:5] scope:SCOPE_SYS
	s_wait_loadcnt 0x0
	s_wait_alu 0xfffe
	v_cmp_ne_u64_e32 vcc_lo, s[8:9], v[1:2]
	s_cbranch_vccnz .LBB1_1611
; %bb.1612:                             ;   in Loop: Header=BB1_1 Depth=1
	v_dual_mov_b32 v1, s8 :: v_dual_mov_b32 v2, s9
	s_add_co_i32 s8, s2, 0x326
	s_mov_b32 s9, s3
	global_store_b64 v0, v[1:2], s[6:7] scope:SCOPE_SYS
.LBB1_1613:                             ;   Parent Loop BB1_1 Depth=1
                                        ; =>  This Inner Loop Header: Depth=2
	global_load_b64 v[1:2], v0, s[4:5] scope:SCOPE_SYS
	s_wait_loadcnt 0x0
	s_wait_alu 0xfffe
	v_cmp_ne_u64_e32 vcc_lo, s[8:9], v[1:2]
	s_cbranch_vccnz .LBB1_1613
; %bb.1614:                             ;   in Loop: Header=BB1_1 Depth=1
	v_dual_mov_b32 v1, s8 :: v_dual_mov_b32 v2, s9
	s_add_co_i32 s8, s2, 0x327
	s_mov_b32 s9, s3
	global_store_b64 v0, v[1:2], s[6:7] scope:SCOPE_SYS
.LBB1_1615:                             ;   Parent Loop BB1_1 Depth=1
                                        ; =>  This Inner Loop Header: Depth=2
	global_load_b64 v[1:2], v0, s[4:5] scope:SCOPE_SYS
	s_wait_loadcnt 0x0
	s_wait_alu 0xfffe
	v_cmp_ne_u64_e32 vcc_lo, s[8:9], v[1:2]
	s_cbranch_vccnz .LBB1_1615
; %bb.1616:                             ;   in Loop: Header=BB1_1 Depth=1
	v_dual_mov_b32 v1, s8 :: v_dual_mov_b32 v2, s9
	s_add_co_i32 s8, s2, 0x328
	s_mov_b32 s9, s3
	global_store_b64 v0, v[1:2], s[6:7] scope:SCOPE_SYS
.LBB1_1617:                             ;   Parent Loop BB1_1 Depth=1
                                        ; =>  This Inner Loop Header: Depth=2
	global_load_b64 v[1:2], v0, s[4:5] scope:SCOPE_SYS
	s_wait_loadcnt 0x0
	s_wait_alu 0xfffe
	v_cmp_ne_u64_e32 vcc_lo, s[8:9], v[1:2]
	s_cbranch_vccnz .LBB1_1617
; %bb.1618:                             ;   in Loop: Header=BB1_1 Depth=1
	v_dual_mov_b32 v1, s8 :: v_dual_mov_b32 v2, s9
	s_add_co_i32 s8, s2, 0x329
	s_mov_b32 s9, s3
	global_store_b64 v0, v[1:2], s[6:7] scope:SCOPE_SYS
.LBB1_1619:                             ;   Parent Loop BB1_1 Depth=1
                                        ; =>  This Inner Loop Header: Depth=2
	global_load_b64 v[1:2], v0, s[4:5] scope:SCOPE_SYS
	s_wait_loadcnt 0x0
	s_wait_alu 0xfffe
	v_cmp_ne_u64_e32 vcc_lo, s[8:9], v[1:2]
	s_cbranch_vccnz .LBB1_1619
; %bb.1620:                             ;   in Loop: Header=BB1_1 Depth=1
	v_dual_mov_b32 v1, s8 :: v_dual_mov_b32 v2, s9
	s_add_co_i32 s8, s2, 0x32a
	s_mov_b32 s9, s3
	global_store_b64 v0, v[1:2], s[6:7] scope:SCOPE_SYS
.LBB1_1621:                             ;   Parent Loop BB1_1 Depth=1
                                        ; =>  This Inner Loop Header: Depth=2
	global_load_b64 v[1:2], v0, s[4:5] scope:SCOPE_SYS
	s_wait_loadcnt 0x0
	s_wait_alu 0xfffe
	v_cmp_ne_u64_e32 vcc_lo, s[8:9], v[1:2]
	s_cbranch_vccnz .LBB1_1621
; %bb.1622:                             ;   in Loop: Header=BB1_1 Depth=1
	v_dual_mov_b32 v1, s8 :: v_dual_mov_b32 v2, s9
	s_add_co_i32 s8, s2, 0x32b
	s_mov_b32 s9, s3
	global_store_b64 v0, v[1:2], s[6:7] scope:SCOPE_SYS
.LBB1_1623:                             ;   Parent Loop BB1_1 Depth=1
                                        ; =>  This Inner Loop Header: Depth=2
	global_load_b64 v[1:2], v0, s[4:5] scope:SCOPE_SYS
	s_wait_loadcnt 0x0
	s_wait_alu 0xfffe
	v_cmp_ne_u64_e32 vcc_lo, s[8:9], v[1:2]
	s_cbranch_vccnz .LBB1_1623
; %bb.1624:                             ;   in Loop: Header=BB1_1 Depth=1
	v_dual_mov_b32 v1, s8 :: v_dual_mov_b32 v2, s9
	s_add_co_i32 s8, s2, 0x32c
	s_mov_b32 s9, s3
	global_store_b64 v0, v[1:2], s[6:7] scope:SCOPE_SYS
.LBB1_1625:                             ;   Parent Loop BB1_1 Depth=1
                                        ; =>  This Inner Loop Header: Depth=2
	global_load_b64 v[1:2], v0, s[4:5] scope:SCOPE_SYS
	s_wait_loadcnt 0x0
	s_wait_alu 0xfffe
	v_cmp_ne_u64_e32 vcc_lo, s[8:9], v[1:2]
	s_cbranch_vccnz .LBB1_1625
; %bb.1626:                             ;   in Loop: Header=BB1_1 Depth=1
	v_dual_mov_b32 v1, s8 :: v_dual_mov_b32 v2, s9
	s_add_co_i32 s8, s2, 0x32d
	s_mov_b32 s9, s3
	global_store_b64 v0, v[1:2], s[6:7] scope:SCOPE_SYS
.LBB1_1627:                             ;   Parent Loop BB1_1 Depth=1
                                        ; =>  This Inner Loop Header: Depth=2
	global_load_b64 v[1:2], v0, s[4:5] scope:SCOPE_SYS
	s_wait_loadcnt 0x0
	s_wait_alu 0xfffe
	v_cmp_ne_u64_e32 vcc_lo, s[8:9], v[1:2]
	s_cbranch_vccnz .LBB1_1627
; %bb.1628:                             ;   in Loop: Header=BB1_1 Depth=1
	v_dual_mov_b32 v1, s8 :: v_dual_mov_b32 v2, s9
	s_add_co_i32 s8, s2, 0x32e
	s_mov_b32 s9, s3
	global_store_b64 v0, v[1:2], s[6:7] scope:SCOPE_SYS
.LBB1_1629:                             ;   Parent Loop BB1_1 Depth=1
                                        ; =>  This Inner Loop Header: Depth=2
	global_load_b64 v[1:2], v0, s[4:5] scope:SCOPE_SYS
	s_wait_loadcnt 0x0
	s_wait_alu 0xfffe
	v_cmp_ne_u64_e32 vcc_lo, s[8:9], v[1:2]
	s_cbranch_vccnz .LBB1_1629
; %bb.1630:                             ;   in Loop: Header=BB1_1 Depth=1
	v_dual_mov_b32 v1, s8 :: v_dual_mov_b32 v2, s9
	s_add_co_i32 s8, s2, 0x32f
	s_mov_b32 s9, s3
	global_store_b64 v0, v[1:2], s[6:7] scope:SCOPE_SYS
.LBB1_1631:                             ;   Parent Loop BB1_1 Depth=1
                                        ; =>  This Inner Loop Header: Depth=2
	global_load_b64 v[1:2], v0, s[4:5] scope:SCOPE_SYS
	s_wait_loadcnt 0x0
	s_wait_alu 0xfffe
	v_cmp_ne_u64_e32 vcc_lo, s[8:9], v[1:2]
	s_cbranch_vccnz .LBB1_1631
; %bb.1632:                             ;   in Loop: Header=BB1_1 Depth=1
	v_dual_mov_b32 v1, s8 :: v_dual_mov_b32 v2, s9
	s_add_co_i32 s8, s2, 0x330
	s_mov_b32 s9, s3
	global_store_b64 v0, v[1:2], s[6:7] scope:SCOPE_SYS
.LBB1_1633:                             ;   Parent Loop BB1_1 Depth=1
                                        ; =>  This Inner Loop Header: Depth=2
	global_load_b64 v[1:2], v0, s[4:5] scope:SCOPE_SYS
	s_wait_loadcnt 0x0
	s_wait_alu 0xfffe
	v_cmp_ne_u64_e32 vcc_lo, s[8:9], v[1:2]
	s_cbranch_vccnz .LBB1_1633
; %bb.1634:                             ;   in Loop: Header=BB1_1 Depth=1
	v_dual_mov_b32 v1, s8 :: v_dual_mov_b32 v2, s9
	s_add_co_i32 s8, s2, 0x331
	s_mov_b32 s9, s3
	global_store_b64 v0, v[1:2], s[6:7] scope:SCOPE_SYS
.LBB1_1635:                             ;   Parent Loop BB1_1 Depth=1
                                        ; =>  This Inner Loop Header: Depth=2
	global_load_b64 v[1:2], v0, s[4:5] scope:SCOPE_SYS
	s_wait_loadcnt 0x0
	s_wait_alu 0xfffe
	v_cmp_ne_u64_e32 vcc_lo, s[8:9], v[1:2]
	s_cbranch_vccnz .LBB1_1635
; %bb.1636:                             ;   in Loop: Header=BB1_1 Depth=1
	v_dual_mov_b32 v1, s8 :: v_dual_mov_b32 v2, s9
	s_add_co_i32 s8, s2, 0x332
	s_mov_b32 s9, s3
	global_store_b64 v0, v[1:2], s[6:7] scope:SCOPE_SYS
.LBB1_1637:                             ;   Parent Loop BB1_1 Depth=1
                                        ; =>  This Inner Loop Header: Depth=2
	global_load_b64 v[1:2], v0, s[4:5] scope:SCOPE_SYS
	s_wait_loadcnt 0x0
	s_wait_alu 0xfffe
	v_cmp_ne_u64_e32 vcc_lo, s[8:9], v[1:2]
	s_cbranch_vccnz .LBB1_1637
; %bb.1638:                             ;   in Loop: Header=BB1_1 Depth=1
	v_dual_mov_b32 v1, s8 :: v_dual_mov_b32 v2, s9
	s_add_co_i32 s8, s2, 0x333
	s_mov_b32 s9, s3
	global_store_b64 v0, v[1:2], s[6:7] scope:SCOPE_SYS
.LBB1_1639:                             ;   Parent Loop BB1_1 Depth=1
                                        ; =>  This Inner Loop Header: Depth=2
	global_load_b64 v[1:2], v0, s[4:5] scope:SCOPE_SYS
	s_wait_loadcnt 0x0
	s_wait_alu 0xfffe
	v_cmp_ne_u64_e32 vcc_lo, s[8:9], v[1:2]
	s_cbranch_vccnz .LBB1_1639
; %bb.1640:                             ;   in Loop: Header=BB1_1 Depth=1
	v_dual_mov_b32 v1, s8 :: v_dual_mov_b32 v2, s9
	s_add_co_i32 s8, s2, 0x334
	s_mov_b32 s9, s3
	global_store_b64 v0, v[1:2], s[6:7] scope:SCOPE_SYS
.LBB1_1641:                             ;   Parent Loop BB1_1 Depth=1
                                        ; =>  This Inner Loop Header: Depth=2
	global_load_b64 v[1:2], v0, s[4:5] scope:SCOPE_SYS
	s_wait_loadcnt 0x0
	s_wait_alu 0xfffe
	v_cmp_ne_u64_e32 vcc_lo, s[8:9], v[1:2]
	s_cbranch_vccnz .LBB1_1641
; %bb.1642:                             ;   in Loop: Header=BB1_1 Depth=1
	v_dual_mov_b32 v1, s8 :: v_dual_mov_b32 v2, s9
	s_add_co_i32 s8, s2, 0x335
	s_mov_b32 s9, s3
	global_store_b64 v0, v[1:2], s[6:7] scope:SCOPE_SYS
.LBB1_1643:                             ;   Parent Loop BB1_1 Depth=1
                                        ; =>  This Inner Loop Header: Depth=2
	global_load_b64 v[1:2], v0, s[4:5] scope:SCOPE_SYS
	s_wait_loadcnt 0x0
	s_wait_alu 0xfffe
	v_cmp_ne_u64_e32 vcc_lo, s[8:9], v[1:2]
	s_cbranch_vccnz .LBB1_1643
; %bb.1644:                             ;   in Loop: Header=BB1_1 Depth=1
	v_dual_mov_b32 v1, s8 :: v_dual_mov_b32 v2, s9
	s_add_co_i32 s8, s2, 0x336
	s_mov_b32 s9, s3
	global_store_b64 v0, v[1:2], s[6:7] scope:SCOPE_SYS
.LBB1_1645:                             ;   Parent Loop BB1_1 Depth=1
                                        ; =>  This Inner Loop Header: Depth=2
	global_load_b64 v[1:2], v0, s[4:5] scope:SCOPE_SYS
	s_wait_loadcnt 0x0
	s_wait_alu 0xfffe
	v_cmp_ne_u64_e32 vcc_lo, s[8:9], v[1:2]
	s_cbranch_vccnz .LBB1_1645
; %bb.1646:                             ;   in Loop: Header=BB1_1 Depth=1
	v_dual_mov_b32 v1, s8 :: v_dual_mov_b32 v2, s9
	s_add_co_i32 s8, s2, 0x337
	s_mov_b32 s9, s3
	global_store_b64 v0, v[1:2], s[6:7] scope:SCOPE_SYS
.LBB1_1647:                             ;   Parent Loop BB1_1 Depth=1
                                        ; =>  This Inner Loop Header: Depth=2
	global_load_b64 v[1:2], v0, s[4:5] scope:SCOPE_SYS
	s_wait_loadcnt 0x0
	s_wait_alu 0xfffe
	v_cmp_ne_u64_e32 vcc_lo, s[8:9], v[1:2]
	s_cbranch_vccnz .LBB1_1647
; %bb.1648:                             ;   in Loop: Header=BB1_1 Depth=1
	v_dual_mov_b32 v1, s8 :: v_dual_mov_b32 v2, s9
	s_add_co_i32 s8, s2, 0x338
	s_mov_b32 s9, s3
	global_store_b64 v0, v[1:2], s[6:7] scope:SCOPE_SYS
.LBB1_1649:                             ;   Parent Loop BB1_1 Depth=1
                                        ; =>  This Inner Loop Header: Depth=2
	global_load_b64 v[1:2], v0, s[4:5] scope:SCOPE_SYS
	s_wait_loadcnt 0x0
	s_wait_alu 0xfffe
	v_cmp_ne_u64_e32 vcc_lo, s[8:9], v[1:2]
	s_cbranch_vccnz .LBB1_1649
; %bb.1650:                             ;   in Loop: Header=BB1_1 Depth=1
	v_dual_mov_b32 v1, s8 :: v_dual_mov_b32 v2, s9
	s_add_co_i32 s8, s2, 0x339
	s_mov_b32 s9, s3
	global_store_b64 v0, v[1:2], s[6:7] scope:SCOPE_SYS
.LBB1_1651:                             ;   Parent Loop BB1_1 Depth=1
                                        ; =>  This Inner Loop Header: Depth=2
	global_load_b64 v[1:2], v0, s[4:5] scope:SCOPE_SYS
	s_wait_loadcnt 0x0
	s_wait_alu 0xfffe
	v_cmp_ne_u64_e32 vcc_lo, s[8:9], v[1:2]
	s_cbranch_vccnz .LBB1_1651
; %bb.1652:                             ;   in Loop: Header=BB1_1 Depth=1
	v_dual_mov_b32 v1, s8 :: v_dual_mov_b32 v2, s9
	s_add_co_i32 s8, s2, 0x33a
	s_mov_b32 s9, s3
	global_store_b64 v0, v[1:2], s[6:7] scope:SCOPE_SYS
.LBB1_1653:                             ;   Parent Loop BB1_1 Depth=1
                                        ; =>  This Inner Loop Header: Depth=2
	global_load_b64 v[1:2], v0, s[4:5] scope:SCOPE_SYS
	s_wait_loadcnt 0x0
	s_wait_alu 0xfffe
	v_cmp_ne_u64_e32 vcc_lo, s[8:9], v[1:2]
	s_cbranch_vccnz .LBB1_1653
; %bb.1654:                             ;   in Loop: Header=BB1_1 Depth=1
	v_dual_mov_b32 v1, s8 :: v_dual_mov_b32 v2, s9
	s_add_co_i32 s8, s2, 0x33b
	s_mov_b32 s9, s3
	global_store_b64 v0, v[1:2], s[6:7] scope:SCOPE_SYS
.LBB1_1655:                             ;   Parent Loop BB1_1 Depth=1
                                        ; =>  This Inner Loop Header: Depth=2
	global_load_b64 v[1:2], v0, s[4:5] scope:SCOPE_SYS
	s_wait_loadcnt 0x0
	s_wait_alu 0xfffe
	v_cmp_ne_u64_e32 vcc_lo, s[8:9], v[1:2]
	s_cbranch_vccnz .LBB1_1655
; %bb.1656:                             ;   in Loop: Header=BB1_1 Depth=1
	v_dual_mov_b32 v1, s8 :: v_dual_mov_b32 v2, s9
	s_add_co_i32 s8, s2, 0x33c
	s_mov_b32 s9, s3
	global_store_b64 v0, v[1:2], s[6:7] scope:SCOPE_SYS
.LBB1_1657:                             ;   Parent Loop BB1_1 Depth=1
                                        ; =>  This Inner Loop Header: Depth=2
	global_load_b64 v[1:2], v0, s[4:5] scope:SCOPE_SYS
	s_wait_loadcnt 0x0
	s_wait_alu 0xfffe
	v_cmp_ne_u64_e32 vcc_lo, s[8:9], v[1:2]
	s_cbranch_vccnz .LBB1_1657
; %bb.1658:                             ;   in Loop: Header=BB1_1 Depth=1
	v_dual_mov_b32 v1, s8 :: v_dual_mov_b32 v2, s9
	s_add_co_i32 s8, s2, 0x33d
	s_mov_b32 s9, s3
	global_store_b64 v0, v[1:2], s[6:7] scope:SCOPE_SYS
.LBB1_1659:                             ;   Parent Loop BB1_1 Depth=1
                                        ; =>  This Inner Loop Header: Depth=2
	global_load_b64 v[1:2], v0, s[4:5] scope:SCOPE_SYS
	s_wait_loadcnt 0x0
	s_wait_alu 0xfffe
	v_cmp_ne_u64_e32 vcc_lo, s[8:9], v[1:2]
	s_cbranch_vccnz .LBB1_1659
; %bb.1660:                             ;   in Loop: Header=BB1_1 Depth=1
	v_dual_mov_b32 v1, s8 :: v_dual_mov_b32 v2, s9
	s_add_co_i32 s8, s2, 0x33e
	s_mov_b32 s9, s3
	global_store_b64 v0, v[1:2], s[6:7] scope:SCOPE_SYS
.LBB1_1661:                             ;   Parent Loop BB1_1 Depth=1
                                        ; =>  This Inner Loop Header: Depth=2
	global_load_b64 v[1:2], v0, s[4:5] scope:SCOPE_SYS
	s_wait_loadcnt 0x0
	s_wait_alu 0xfffe
	v_cmp_ne_u64_e32 vcc_lo, s[8:9], v[1:2]
	s_cbranch_vccnz .LBB1_1661
; %bb.1662:                             ;   in Loop: Header=BB1_1 Depth=1
	v_dual_mov_b32 v1, s8 :: v_dual_mov_b32 v2, s9
	s_add_co_i32 s8, s2, 0x33f
	s_mov_b32 s9, s3
	global_store_b64 v0, v[1:2], s[6:7] scope:SCOPE_SYS
.LBB1_1663:                             ;   Parent Loop BB1_1 Depth=1
                                        ; =>  This Inner Loop Header: Depth=2
	global_load_b64 v[1:2], v0, s[4:5] scope:SCOPE_SYS
	s_wait_loadcnt 0x0
	s_wait_alu 0xfffe
	v_cmp_ne_u64_e32 vcc_lo, s[8:9], v[1:2]
	s_cbranch_vccnz .LBB1_1663
; %bb.1664:                             ;   in Loop: Header=BB1_1 Depth=1
	v_dual_mov_b32 v1, s8 :: v_dual_mov_b32 v2, s9
	s_add_co_i32 s8, s2, 0x340
	s_mov_b32 s9, s3
	global_store_b64 v0, v[1:2], s[6:7] scope:SCOPE_SYS
.LBB1_1665:                             ;   Parent Loop BB1_1 Depth=1
                                        ; =>  This Inner Loop Header: Depth=2
	global_load_b64 v[1:2], v0, s[4:5] scope:SCOPE_SYS
	s_wait_loadcnt 0x0
	s_wait_alu 0xfffe
	v_cmp_ne_u64_e32 vcc_lo, s[8:9], v[1:2]
	s_cbranch_vccnz .LBB1_1665
; %bb.1666:                             ;   in Loop: Header=BB1_1 Depth=1
	v_dual_mov_b32 v1, s8 :: v_dual_mov_b32 v2, s9
	s_add_co_i32 s8, s2, 0x341
	s_mov_b32 s9, s3
	global_store_b64 v0, v[1:2], s[6:7] scope:SCOPE_SYS
.LBB1_1667:                             ;   Parent Loop BB1_1 Depth=1
                                        ; =>  This Inner Loop Header: Depth=2
	global_load_b64 v[1:2], v0, s[4:5] scope:SCOPE_SYS
	s_wait_loadcnt 0x0
	s_wait_alu 0xfffe
	v_cmp_ne_u64_e32 vcc_lo, s[8:9], v[1:2]
	s_cbranch_vccnz .LBB1_1667
; %bb.1668:                             ;   in Loop: Header=BB1_1 Depth=1
	v_dual_mov_b32 v1, s8 :: v_dual_mov_b32 v2, s9
	s_add_co_i32 s8, s2, 0x342
	s_mov_b32 s9, s3
	global_store_b64 v0, v[1:2], s[6:7] scope:SCOPE_SYS
.LBB1_1669:                             ;   Parent Loop BB1_1 Depth=1
                                        ; =>  This Inner Loop Header: Depth=2
	global_load_b64 v[1:2], v0, s[4:5] scope:SCOPE_SYS
	s_wait_loadcnt 0x0
	s_wait_alu 0xfffe
	v_cmp_ne_u64_e32 vcc_lo, s[8:9], v[1:2]
	s_cbranch_vccnz .LBB1_1669
; %bb.1670:                             ;   in Loop: Header=BB1_1 Depth=1
	v_dual_mov_b32 v1, s8 :: v_dual_mov_b32 v2, s9
	s_add_co_i32 s8, s2, 0x343
	s_mov_b32 s9, s3
	global_store_b64 v0, v[1:2], s[6:7] scope:SCOPE_SYS
.LBB1_1671:                             ;   Parent Loop BB1_1 Depth=1
                                        ; =>  This Inner Loop Header: Depth=2
	global_load_b64 v[1:2], v0, s[4:5] scope:SCOPE_SYS
	s_wait_loadcnt 0x0
	s_wait_alu 0xfffe
	v_cmp_ne_u64_e32 vcc_lo, s[8:9], v[1:2]
	s_cbranch_vccnz .LBB1_1671
; %bb.1672:                             ;   in Loop: Header=BB1_1 Depth=1
	v_dual_mov_b32 v1, s8 :: v_dual_mov_b32 v2, s9
	s_add_co_i32 s8, s2, 0x344
	s_mov_b32 s9, s3
	global_store_b64 v0, v[1:2], s[6:7] scope:SCOPE_SYS
.LBB1_1673:                             ;   Parent Loop BB1_1 Depth=1
                                        ; =>  This Inner Loop Header: Depth=2
	global_load_b64 v[1:2], v0, s[4:5] scope:SCOPE_SYS
	s_wait_loadcnt 0x0
	s_wait_alu 0xfffe
	v_cmp_ne_u64_e32 vcc_lo, s[8:9], v[1:2]
	s_cbranch_vccnz .LBB1_1673
; %bb.1674:                             ;   in Loop: Header=BB1_1 Depth=1
	v_dual_mov_b32 v1, s8 :: v_dual_mov_b32 v2, s9
	s_add_co_i32 s8, s2, 0x345
	s_mov_b32 s9, s3
	global_store_b64 v0, v[1:2], s[6:7] scope:SCOPE_SYS
.LBB1_1675:                             ;   Parent Loop BB1_1 Depth=1
                                        ; =>  This Inner Loop Header: Depth=2
	global_load_b64 v[1:2], v0, s[4:5] scope:SCOPE_SYS
	s_wait_loadcnt 0x0
	s_wait_alu 0xfffe
	v_cmp_ne_u64_e32 vcc_lo, s[8:9], v[1:2]
	s_cbranch_vccnz .LBB1_1675
; %bb.1676:                             ;   in Loop: Header=BB1_1 Depth=1
	v_dual_mov_b32 v1, s8 :: v_dual_mov_b32 v2, s9
	s_add_co_i32 s8, s2, 0x346
	s_mov_b32 s9, s3
	global_store_b64 v0, v[1:2], s[6:7] scope:SCOPE_SYS
.LBB1_1677:                             ;   Parent Loop BB1_1 Depth=1
                                        ; =>  This Inner Loop Header: Depth=2
	global_load_b64 v[1:2], v0, s[4:5] scope:SCOPE_SYS
	s_wait_loadcnt 0x0
	s_wait_alu 0xfffe
	v_cmp_ne_u64_e32 vcc_lo, s[8:9], v[1:2]
	s_cbranch_vccnz .LBB1_1677
; %bb.1678:                             ;   in Loop: Header=BB1_1 Depth=1
	v_dual_mov_b32 v1, s8 :: v_dual_mov_b32 v2, s9
	s_add_co_i32 s8, s2, 0x347
	s_mov_b32 s9, s3
	global_store_b64 v0, v[1:2], s[6:7] scope:SCOPE_SYS
.LBB1_1679:                             ;   Parent Loop BB1_1 Depth=1
                                        ; =>  This Inner Loop Header: Depth=2
	global_load_b64 v[1:2], v0, s[4:5] scope:SCOPE_SYS
	s_wait_loadcnt 0x0
	s_wait_alu 0xfffe
	v_cmp_ne_u64_e32 vcc_lo, s[8:9], v[1:2]
	s_cbranch_vccnz .LBB1_1679
; %bb.1680:                             ;   in Loop: Header=BB1_1 Depth=1
	v_dual_mov_b32 v1, s8 :: v_dual_mov_b32 v2, s9
	s_add_co_i32 s8, s2, 0x348
	s_mov_b32 s9, s3
	global_store_b64 v0, v[1:2], s[6:7] scope:SCOPE_SYS
.LBB1_1681:                             ;   Parent Loop BB1_1 Depth=1
                                        ; =>  This Inner Loop Header: Depth=2
	global_load_b64 v[1:2], v0, s[4:5] scope:SCOPE_SYS
	s_wait_loadcnt 0x0
	s_wait_alu 0xfffe
	v_cmp_ne_u64_e32 vcc_lo, s[8:9], v[1:2]
	s_cbranch_vccnz .LBB1_1681
; %bb.1682:                             ;   in Loop: Header=BB1_1 Depth=1
	v_dual_mov_b32 v1, s8 :: v_dual_mov_b32 v2, s9
	s_add_co_i32 s8, s2, 0x349
	s_mov_b32 s9, s3
	global_store_b64 v0, v[1:2], s[6:7] scope:SCOPE_SYS
.LBB1_1683:                             ;   Parent Loop BB1_1 Depth=1
                                        ; =>  This Inner Loop Header: Depth=2
	global_load_b64 v[1:2], v0, s[4:5] scope:SCOPE_SYS
	s_wait_loadcnt 0x0
	s_wait_alu 0xfffe
	v_cmp_ne_u64_e32 vcc_lo, s[8:9], v[1:2]
	s_cbranch_vccnz .LBB1_1683
; %bb.1684:                             ;   in Loop: Header=BB1_1 Depth=1
	v_dual_mov_b32 v1, s8 :: v_dual_mov_b32 v2, s9
	s_add_co_i32 s8, s2, 0x34a
	s_mov_b32 s9, s3
	global_store_b64 v0, v[1:2], s[6:7] scope:SCOPE_SYS
.LBB1_1685:                             ;   Parent Loop BB1_1 Depth=1
                                        ; =>  This Inner Loop Header: Depth=2
	global_load_b64 v[1:2], v0, s[4:5] scope:SCOPE_SYS
	s_wait_loadcnt 0x0
	s_wait_alu 0xfffe
	v_cmp_ne_u64_e32 vcc_lo, s[8:9], v[1:2]
	s_cbranch_vccnz .LBB1_1685
; %bb.1686:                             ;   in Loop: Header=BB1_1 Depth=1
	v_dual_mov_b32 v1, s8 :: v_dual_mov_b32 v2, s9
	s_add_co_i32 s8, s2, 0x34b
	s_mov_b32 s9, s3
	global_store_b64 v0, v[1:2], s[6:7] scope:SCOPE_SYS
.LBB1_1687:                             ;   Parent Loop BB1_1 Depth=1
                                        ; =>  This Inner Loop Header: Depth=2
	global_load_b64 v[1:2], v0, s[4:5] scope:SCOPE_SYS
	s_wait_loadcnt 0x0
	s_wait_alu 0xfffe
	v_cmp_ne_u64_e32 vcc_lo, s[8:9], v[1:2]
	s_cbranch_vccnz .LBB1_1687
; %bb.1688:                             ;   in Loop: Header=BB1_1 Depth=1
	v_dual_mov_b32 v1, s8 :: v_dual_mov_b32 v2, s9
	s_add_co_i32 s8, s2, 0x34c
	s_mov_b32 s9, s3
	global_store_b64 v0, v[1:2], s[6:7] scope:SCOPE_SYS
.LBB1_1689:                             ;   Parent Loop BB1_1 Depth=1
                                        ; =>  This Inner Loop Header: Depth=2
	global_load_b64 v[1:2], v0, s[4:5] scope:SCOPE_SYS
	s_wait_loadcnt 0x0
	s_wait_alu 0xfffe
	v_cmp_ne_u64_e32 vcc_lo, s[8:9], v[1:2]
	s_cbranch_vccnz .LBB1_1689
; %bb.1690:                             ;   in Loop: Header=BB1_1 Depth=1
	v_dual_mov_b32 v1, s8 :: v_dual_mov_b32 v2, s9
	s_add_co_i32 s8, s2, 0x34d
	s_mov_b32 s9, s3
	global_store_b64 v0, v[1:2], s[6:7] scope:SCOPE_SYS
.LBB1_1691:                             ;   Parent Loop BB1_1 Depth=1
                                        ; =>  This Inner Loop Header: Depth=2
	global_load_b64 v[1:2], v0, s[4:5] scope:SCOPE_SYS
	s_wait_loadcnt 0x0
	s_wait_alu 0xfffe
	v_cmp_ne_u64_e32 vcc_lo, s[8:9], v[1:2]
	s_cbranch_vccnz .LBB1_1691
; %bb.1692:                             ;   in Loop: Header=BB1_1 Depth=1
	v_dual_mov_b32 v1, s8 :: v_dual_mov_b32 v2, s9
	s_add_co_i32 s8, s2, 0x34e
	s_mov_b32 s9, s3
	global_store_b64 v0, v[1:2], s[6:7] scope:SCOPE_SYS
.LBB1_1693:                             ;   Parent Loop BB1_1 Depth=1
                                        ; =>  This Inner Loop Header: Depth=2
	global_load_b64 v[1:2], v0, s[4:5] scope:SCOPE_SYS
	s_wait_loadcnt 0x0
	s_wait_alu 0xfffe
	v_cmp_ne_u64_e32 vcc_lo, s[8:9], v[1:2]
	s_cbranch_vccnz .LBB1_1693
; %bb.1694:                             ;   in Loop: Header=BB1_1 Depth=1
	v_dual_mov_b32 v1, s8 :: v_dual_mov_b32 v2, s9
	s_add_co_i32 s8, s2, 0x34f
	s_mov_b32 s9, s3
	global_store_b64 v0, v[1:2], s[6:7] scope:SCOPE_SYS
.LBB1_1695:                             ;   Parent Loop BB1_1 Depth=1
                                        ; =>  This Inner Loop Header: Depth=2
	global_load_b64 v[1:2], v0, s[4:5] scope:SCOPE_SYS
	s_wait_loadcnt 0x0
	s_wait_alu 0xfffe
	v_cmp_ne_u64_e32 vcc_lo, s[8:9], v[1:2]
	s_cbranch_vccnz .LBB1_1695
; %bb.1696:                             ;   in Loop: Header=BB1_1 Depth=1
	v_dual_mov_b32 v1, s8 :: v_dual_mov_b32 v2, s9
	s_add_co_i32 s8, s2, 0x350
	s_mov_b32 s9, s3
	global_store_b64 v0, v[1:2], s[6:7] scope:SCOPE_SYS
.LBB1_1697:                             ;   Parent Loop BB1_1 Depth=1
                                        ; =>  This Inner Loop Header: Depth=2
	global_load_b64 v[1:2], v0, s[4:5] scope:SCOPE_SYS
	s_wait_loadcnt 0x0
	s_wait_alu 0xfffe
	v_cmp_ne_u64_e32 vcc_lo, s[8:9], v[1:2]
	s_cbranch_vccnz .LBB1_1697
; %bb.1698:                             ;   in Loop: Header=BB1_1 Depth=1
	v_dual_mov_b32 v1, s8 :: v_dual_mov_b32 v2, s9
	s_add_co_i32 s8, s2, 0x351
	s_mov_b32 s9, s3
	global_store_b64 v0, v[1:2], s[6:7] scope:SCOPE_SYS
.LBB1_1699:                             ;   Parent Loop BB1_1 Depth=1
                                        ; =>  This Inner Loop Header: Depth=2
	global_load_b64 v[1:2], v0, s[4:5] scope:SCOPE_SYS
	s_wait_loadcnt 0x0
	s_wait_alu 0xfffe
	v_cmp_ne_u64_e32 vcc_lo, s[8:9], v[1:2]
	s_cbranch_vccnz .LBB1_1699
; %bb.1700:                             ;   in Loop: Header=BB1_1 Depth=1
	v_dual_mov_b32 v1, s8 :: v_dual_mov_b32 v2, s9
	s_add_co_i32 s8, s2, 0x352
	s_mov_b32 s9, s3
	global_store_b64 v0, v[1:2], s[6:7] scope:SCOPE_SYS
.LBB1_1701:                             ;   Parent Loop BB1_1 Depth=1
                                        ; =>  This Inner Loop Header: Depth=2
	global_load_b64 v[1:2], v0, s[4:5] scope:SCOPE_SYS
	s_wait_loadcnt 0x0
	s_wait_alu 0xfffe
	v_cmp_ne_u64_e32 vcc_lo, s[8:9], v[1:2]
	s_cbranch_vccnz .LBB1_1701
; %bb.1702:                             ;   in Loop: Header=BB1_1 Depth=1
	v_dual_mov_b32 v1, s8 :: v_dual_mov_b32 v2, s9
	s_add_co_i32 s8, s2, 0x353
	s_mov_b32 s9, s3
	global_store_b64 v0, v[1:2], s[6:7] scope:SCOPE_SYS
.LBB1_1703:                             ;   Parent Loop BB1_1 Depth=1
                                        ; =>  This Inner Loop Header: Depth=2
	global_load_b64 v[1:2], v0, s[4:5] scope:SCOPE_SYS
	s_wait_loadcnt 0x0
	s_wait_alu 0xfffe
	v_cmp_ne_u64_e32 vcc_lo, s[8:9], v[1:2]
	s_cbranch_vccnz .LBB1_1703
; %bb.1704:                             ;   in Loop: Header=BB1_1 Depth=1
	v_dual_mov_b32 v1, s8 :: v_dual_mov_b32 v2, s9
	s_add_co_i32 s8, s2, 0x354
	s_mov_b32 s9, s3
	global_store_b64 v0, v[1:2], s[6:7] scope:SCOPE_SYS
.LBB1_1705:                             ;   Parent Loop BB1_1 Depth=1
                                        ; =>  This Inner Loop Header: Depth=2
	global_load_b64 v[1:2], v0, s[4:5] scope:SCOPE_SYS
	s_wait_loadcnt 0x0
	s_wait_alu 0xfffe
	v_cmp_ne_u64_e32 vcc_lo, s[8:9], v[1:2]
	s_cbranch_vccnz .LBB1_1705
; %bb.1706:                             ;   in Loop: Header=BB1_1 Depth=1
	v_dual_mov_b32 v1, s8 :: v_dual_mov_b32 v2, s9
	s_add_co_i32 s8, s2, 0x355
	s_mov_b32 s9, s3
	global_store_b64 v0, v[1:2], s[6:7] scope:SCOPE_SYS
.LBB1_1707:                             ;   Parent Loop BB1_1 Depth=1
                                        ; =>  This Inner Loop Header: Depth=2
	global_load_b64 v[1:2], v0, s[4:5] scope:SCOPE_SYS
	s_wait_loadcnt 0x0
	s_wait_alu 0xfffe
	v_cmp_ne_u64_e32 vcc_lo, s[8:9], v[1:2]
	s_cbranch_vccnz .LBB1_1707
; %bb.1708:                             ;   in Loop: Header=BB1_1 Depth=1
	v_dual_mov_b32 v1, s8 :: v_dual_mov_b32 v2, s9
	s_add_co_i32 s8, s2, 0x356
	s_mov_b32 s9, s3
	global_store_b64 v0, v[1:2], s[6:7] scope:SCOPE_SYS
.LBB1_1709:                             ;   Parent Loop BB1_1 Depth=1
                                        ; =>  This Inner Loop Header: Depth=2
	global_load_b64 v[1:2], v0, s[4:5] scope:SCOPE_SYS
	s_wait_loadcnt 0x0
	s_wait_alu 0xfffe
	v_cmp_ne_u64_e32 vcc_lo, s[8:9], v[1:2]
	s_cbranch_vccnz .LBB1_1709
; %bb.1710:                             ;   in Loop: Header=BB1_1 Depth=1
	v_dual_mov_b32 v1, s8 :: v_dual_mov_b32 v2, s9
	s_add_co_i32 s8, s2, 0x357
	s_mov_b32 s9, s3
	global_store_b64 v0, v[1:2], s[6:7] scope:SCOPE_SYS
.LBB1_1711:                             ;   Parent Loop BB1_1 Depth=1
                                        ; =>  This Inner Loop Header: Depth=2
	global_load_b64 v[1:2], v0, s[4:5] scope:SCOPE_SYS
	s_wait_loadcnt 0x0
	s_wait_alu 0xfffe
	v_cmp_ne_u64_e32 vcc_lo, s[8:9], v[1:2]
	s_cbranch_vccnz .LBB1_1711
; %bb.1712:                             ;   in Loop: Header=BB1_1 Depth=1
	v_dual_mov_b32 v1, s8 :: v_dual_mov_b32 v2, s9
	s_add_co_i32 s8, s2, 0x358
	s_mov_b32 s9, s3
	global_store_b64 v0, v[1:2], s[6:7] scope:SCOPE_SYS
.LBB1_1713:                             ;   Parent Loop BB1_1 Depth=1
                                        ; =>  This Inner Loop Header: Depth=2
	global_load_b64 v[1:2], v0, s[4:5] scope:SCOPE_SYS
	s_wait_loadcnt 0x0
	s_wait_alu 0xfffe
	v_cmp_ne_u64_e32 vcc_lo, s[8:9], v[1:2]
	s_cbranch_vccnz .LBB1_1713
; %bb.1714:                             ;   in Loop: Header=BB1_1 Depth=1
	v_dual_mov_b32 v1, s8 :: v_dual_mov_b32 v2, s9
	s_add_co_i32 s8, s2, 0x359
	s_mov_b32 s9, s3
	global_store_b64 v0, v[1:2], s[6:7] scope:SCOPE_SYS
.LBB1_1715:                             ;   Parent Loop BB1_1 Depth=1
                                        ; =>  This Inner Loop Header: Depth=2
	global_load_b64 v[1:2], v0, s[4:5] scope:SCOPE_SYS
	s_wait_loadcnt 0x0
	s_wait_alu 0xfffe
	v_cmp_ne_u64_e32 vcc_lo, s[8:9], v[1:2]
	s_cbranch_vccnz .LBB1_1715
; %bb.1716:                             ;   in Loop: Header=BB1_1 Depth=1
	v_dual_mov_b32 v1, s8 :: v_dual_mov_b32 v2, s9
	s_add_co_i32 s8, s2, 0x35a
	s_mov_b32 s9, s3
	global_store_b64 v0, v[1:2], s[6:7] scope:SCOPE_SYS
.LBB1_1717:                             ;   Parent Loop BB1_1 Depth=1
                                        ; =>  This Inner Loop Header: Depth=2
	global_load_b64 v[1:2], v0, s[4:5] scope:SCOPE_SYS
	s_wait_loadcnt 0x0
	s_wait_alu 0xfffe
	v_cmp_ne_u64_e32 vcc_lo, s[8:9], v[1:2]
	s_cbranch_vccnz .LBB1_1717
; %bb.1718:                             ;   in Loop: Header=BB1_1 Depth=1
	v_dual_mov_b32 v1, s8 :: v_dual_mov_b32 v2, s9
	s_add_co_i32 s8, s2, 0x35b
	s_mov_b32 s9, s3
	global_store_b64 v0, v[1:2], s[6:7] scope:SCOPE_SYS
.LBB1_1719:                             ;   Parent Loop BB1_1 Depth=1
                                        ; =>  This Inner Loop Header: Depth=2
	global_load_b64 v[1:2], v0, s[4:5] scope:SCOPE_SYS
	s_wait_loadcnt 0x0
	s_wait_alu 0xfffe
	v_cmp_ne_u64_e32 vcc_lo, s[8:9], v[1:2]
	s_cbranch_vccnz .LBB1_1719
; %bb.1720:                             ;   in Loop: Header=BB1_1 Depth=1
	v_dual_mov_b32 v1, s8 :: v_dual_mov_b32 v2, s9
	s_add_co_i32 s8, s2, 0x35c
	s_mov_b32 s9, s3
	global_store_b64 v0, v[1:2], s[6:7] scope:SCOPE_SYS
.LBB1_1721:                             ;   Parent Loop BB1_1 Depth=1
                                        ; =>  This Inner Loop Header: Depth=2
	global_load_b64 v[1:2], v0, s[4:5] scope:SCOPE_SYS
	s_wait_loadcnt 0x0
	s_wait_alu 0xfffe
	v_cmp_ne_u64_e32 vcc_lo, s[8:9], v[1:2]
	s_cbranch_vccnz .LBB1_1721
; %bb.1722:                             ;   in Loop: Header=BB1_1 Depth=1
	v_dual_mov_b32 v1, s8 :: v_dual_mov_b32 v2, s9
	s_add_co_i32 s8, s2, 0x35d
	s_mov_b32 s9, s3
	global_store_b64 v0, v[1:2], s[6:7] scope:SCOPE_SYS
.LBB1_1723:                             ;   Parent Loop BB1_1 Depth=1
                                        ; =>  This Inner Loop Header: Depth=2
	global_load_b64 v[1:2], v0, s[4:5] scope:SCOPE_SYS
	s_wait_loadcnt 0x0
	s_wait_alu 0xfffe
	v_cmp_ne_u64_e32 vcc_lo, s[8:9], v[1:2]
	s_cbranch_vccnz .LBB1_1723
; %bb.1724:                             ;   in Loop: Header=BB1_1 Depth=1
	v_dual_mov_b32 v1, s8 :: v_dual_mov_b32 v2, s9
	s_add_co_i32 s8, s2, 0x35e
	s_mov_b32 s9, s3
	global_store_b64 v0, v[1:2], s[6:7] scope:SCOPE_SYS
.LBB1_1725:                             ;   Parent Loop BB1_1 Depth=1
                                        ; =>  This Inner Loop Header: Depth=2
	global_load_b64 v[1:2], v0, s[4:5] scope:SCOPE_SYS
	s_wait_loadcnt 0x0
	s_wait_alu 0xfffe
	v_cmp_ne_u64_e32 vcc_lo, s[8:9], v[1:2]
	s_cbranch_vccnz .LBB1_1725
; %bb.1726:                             ;   in Loop: Header=BB1_1 Depth=1
	v_dual_mov_b32 v1, s8 :: v_dual_mov_b32 v2, s9
	s_add_co_i32 s8, s2, 0x35f
	s_mov_b32 s9, s3
	global_store_b64 v0, v[1:2], s[6:7] scope:SCOPE_SYS
.LBB1_1727:                             ;   Parent Loop BB1_1 Depth=1
                                        ; =>  This Inner Loop Header: Depth=2
	global_load_b64 v[1:2], v0, s[4:5] scope:SCOPE_SYS
	s_wait_loadcnt 0x0
	s_wait_alu 0xfffe
	v_cmp_ne_u64_e32 vcc_lo, s[8:9], v[1:2]
	s_cbranch_vccnz .LBB1_1727
; %bb.1728:                             ;   in Loop: Header=BB1_1 Depth=1
	v_dual_mov_b32 v1, s8 :: v_dual_mov_b32 v2, s9
	s_add_co_i32 s8, s2, 0x360
	s_mov_b32 s9, s3
	global_store_b64 v0, v[1:2], s[6:7] scope:SCOPE_SYS
.LBB1_1729:                             ;   Parent Loop BB1_1 Depth=1
                                        ; =>  This Inner Loop Header: Depth=2
	global_load_b64 v[1:2], v0, s[4:5] scope:SCOPE_SYS
	s_wait_loadcnt 0x0
	s_wait_alu 0xfffe
	v_cmp_ne_u64_e32 vcc_lo, s[8:9], v[1:2]
	s_cbranch_vccnz .LBB1_1729
; %bb.1730:                             ;   in Loop: Header=BB1_1 Depth=1
	v_dual_mov_b32 v1, s8 :: v_dual_mov_b32 v2, s9
	s_add_co_i32 s8, s2, 0x361
	s_mov_b32 s9, s3
	global_store_b64 v0, v[1:2], s[6:7] scope:SCOPE_SYS
.LBB1_1731:                             ;   Parent Loop BB1_1 Depth=1
                                        ; =>  This Inner Loop Header: Depth=2
	global_load_b64 v[1:2], v0, s[4:5] scope:SCOPE_SYS
	s_wait_loadcnt 0x0
	s_wait_alu 0xfffe
	v_cmp_ne_u64_e32 vcc_lo, s[8:9], v[1:2]
	s_cbranch_vccnz .LBB1_1731
; %bb.1732:                             ;   in Loop: Header=BB1_1 Depth=1
	v_dual_mov_b32 v1, s8 :: v_dual_mov_b32 v2, s9
	s_add_co_i32 s8, s2, 0x362
	s_mov_b32 s9, s3
	global_store_b64 v0, v[1:2], s[6:7] scope:SCOPE_SYS
.LBB1_1733:                             ;   Parent Loop BB1_1 Depth=1
                                        ; =>  This Inner Loop Header: Depth=2
	global_load_b64 v[1:2], v0, s[4:5] scope:SCOPE_SYS
	s_wait_loadcnt 0x0
	s_wait_alu 0xfffe
	v_cmp_ne_u64_e32 vcc_lo, s[8:9], v[1:2]
	s_cbranch_vccnz .LBB1_1733
; %bb.1734:                             ;   in Loop: Header=BB1_1 Depth=1
	v_dual_mov_b32 v1, s8 :: v_dual_mov_b32 v2, s9
	s_add_co_i32 s8, s2, 0x363
	s_mov_b32 s9, s3
	global_store_b64 v0, v[1:2], s[6:7] scope:SCOPE_SYS
.LBB1_1735:                             ;   Parent Loop BB1_1 Depth=1
                                        ; =>  This Inner Loop Header: Depth=2
	global_load_b64 v[1:2], v0, s[4:5] scope:SCOPE_SYS
	s_wait_loadcnt 0x0
	s_wait_alu 0xfffe
	v_cmp_ne_u64_e32 vcc_lo, s[8:9], v[1:2]
	s_cbranch_vccnz .LBB1_1735
; %bb.1736:                             ;   in Loop: Header=BB1_1 Depth=1
	v_dual_mov_b32 v1, s8 :: v_dual_mov_b32 v2, s9
	s_add_co_i32 s8, s2, 0x364
	s_mov_b32 s9, s3
	global_store_b64 v0, v[1:2], s[6:7] scope:SCOPE_SYS
.LBB1_1737:                             ;   Parent Loop BB1_1 Depth=1
                                        ; =>  This Inner Loop Header: Depth=2
	global_load_b64 v[1:2], v0, s[4:5] scope:SCOPE_SYS
	s_wait_loadcnt 0x0
	s_wait_alu 0xfffe
	v_cmp_ne_u64_e32 vcc_lo, s[8:9], v[1:2]
	s_cbranch_vccnz .LBB1_1737
; %bb.1738:                             ;   in Loop: Header=BB1_1 Depth=1
	v_dual_mov_b32 v1, s8 :: v_dual_mov_b32 v2, s9
	s_add_co_i32 s8, s2, 0x365
	s_mov_b32 s9, s3
	global_store_b64 v0, v[1:2], s[6:7] scope:SCOPE_SYS
.LBB1_1739:                             ;   Parent Loop BB1_1 Depth=1
                                        ; =>  This Inner Loop Header: Depth=2
	global_load_b64 v[1:2], v0, s[4:5] scope:SCOPE_SYS
	s_wait_loadcnt 0x0
	s_wait_alu 0xfffe
	v_cmp_ne_u64_e32 vcc_lo, s[8:9], v[1:2]
	s_cbranch_vccnz .LBB1_1739
; %bb.1740:                             ;   in Loop: Header=BB1_1 Depth=1
	v_dual_mov_b32 v1, s8 :: v_dual_mov_b32 v2, s9
	s_add_co_i32 s8, s2, 0x366
	s_mov_b32 s9, s3
	global_store_b64 v0, v[1:2], s[6:7] scope:SCOPE_SYS
.LBB1_1741:                             ;   Parent Loop BB1_1 Depth=1
                                        ; =>  This Inner Loop Header: Depth=2
	global_load_b64 v[1:2], v0, s[4:5] scope:SCOPE_SYS
	s_wait_loadcnt 0x0
	s_wait_alu 0xfffe
	v_cmp_ne_u64_e32 vcc_lo, s[8:9], v[1:2]
	s_cbranch_vccnz .LBB1_1741
; %bb.1742:                             ;   in Loop: Header=BB1_1 Depth=1
	v_dual_mov_b32 v1, s8 :: v_dual_mov_b32 v2, s9
	s_add_co_i32 s8, s2, 0x367
	s_mov_b32 s9, s3
	global_store_b64 v0, v[1:2], s[6:7] scope:SCOPE_SYS
.LBB1_1743:                             ;   Parent Loop BB1_1 Depth=1
                                        ; =>  This Inner Loop Header: Depth=2
	global_load_b64 v[1:2], v0, s[4:5] scope:SCOPE_SYS
	s_wait_loadcnt 0x0
	s_wait_alu 0xfffe
	v_cmp_ne_u64_e32 vcc_lo, s[8:9], v[1:2]
	s_cbranch_vccnz .LBB1_1743
; %bb.1744:                             ;   in Loop: Header=BB1_1 Depth=1
	v_dual_mov_b32 v1, s8 :: v_dual_mov_b32 v2, s9
	s_add_co_i32 s8, s2, 0x368
	s_mov_b32 s9, s3
	global_store_b64 v0, v[1:2], s[6:7] scope:SCOPE_SYS
.LBB1_1745:                             ;   Parent Loop BB1_1 Depth=1
                                        ; =>  This Inner Loop Header: Depth=2
	global_load_b64 v[1:2], v0, s[4:5] scope:SCOPE_SYS
	s_wait_loadcnt 0x0
	s_wait_alu 0xfffe
	v_cmp_ne_u64_e32 vcc_lo, s[8:9], v[1:2]
	s_cbranch_vccnz .LBB1_1745
; %bb.1746:                             ;   in Loop: Header=BB1_1 Depth=1
	v_dual_mov_b32 v1, s8 :: v_dual_mov_b32 v2, s9
	s_add_co_i32 s8, s2, 0x369
	s_mov_b32 s9, s3
	global_store_b64 v0, v[1:2], s[6:7] scope:SCOPE_SYS
.LBB1_1747:                             ;   Parent Loop BB1_1 Depth=1
                                        ; =>  This Inner Loop Header: Depth=2
	global_load_b64 v[1:2], v0, s[4:5] scope:SCOPE_SYS
	s_wait_loadcnt 0x0
	s_wait_alu 0xfffe
	v_cmp_ne_u64_e32 vcc_lo, s[8:9], v[1:2]
	s_cbranch_vccnz .LBB1_1747
; %bb.1748:                             ;   in Loop: Header=BB1_1 Depth=1
	v_dual_mov_b32 v1, s8 :: v_dual_mov_b32 v2, s9
	s_add_co_i32 s8, s2, 0x36a
	s_mov_b32 s9, s3
	global_store_b64 v0, v[1:2], s[6:7] scope:SCOPE_SYS
.LBB1_1749:                             ;   Parent Loop BB1_1 Depth=1
                                        ; =>  This Inner Loop Header: Depth=2
	global_load_b64 v[1:2], v0, s[4:5] scope:SCOPE_SYS
	s_wait_loadcnt 0x0
	s_wait_alu 0xfffe
	v_cmp_ne_u64_e32 vcc_lo, s[8:9], v[1:2]
	s_cbranch_vccnz .LBB1_1749
; %bb.1750:                             ;   in Loop: Header=BB1_1 Depth=1
	v_dual_mov_b32 v1, s8 :: v_dual_mov_b32 v2, s9
	s_add_co_i32 s8, s2, 0x36b
	s_mov_b32 s9, s3
	global_store_b64 v0, v[1:2], s[6:7] scope:SCOPE_SYS
.LBB1_1751:                             ;   Parent Loop BB1_1 Depth=1
                                        ; =>  This Inner Loop Header: Depth=2
	global_load_b64 v[1:2], v0, s[4:5] scope:SCOPE_SYS
	s_wait_loadcnt 0x0
	s_wait_alu 0xfffe
	v_cmp_ne_u64_e32 vcc_lo, s[8:9], v[1:2]
	s_cbranch_vccnz .LBB1_1751
; %bb.1752:                             ;   in Loop: Header=BB1_1 Depth=1
	v_dual_mov_b32 v1, s8 :: v_dual_mov_b32 v2, s9
	s_add_co_i32 s8, s2, 0x36c
	s_mov_b32 s9, s3
	global_store_b64 v0, v[1:2], s[6:7] scope:SCOPE_SYS
.LBB1_1753:                             ;   Parent Loop BB1_1 Depth=1
                                        ; =>  This Inner Loop Header: Depth=2
	global_load_b64 v[1:2], v0, s[4:5] scope:SCOPE_SYS
	s_wait_loadcnt 0x0
	s_wait_alu 0xfffe
	v_cmp_ne_u64_e32 vcc_lo, s[8:9], v[1:2]
	s_cbranch_vccnz .LBB1_1753
; %bb.1754:                             ;   in Loop: Header=BB1_1 Depth=1
	v_dual_mov_b32 v1, s8 :: v_dual_mov_b32 v2, s9
	s_add_co_i32 s8, s2, 0x36d
	s_mov_b32 s9, s3
	global_store_b64 v0, v[1:2], s[6:7] scope:SCOPE_SYS
.LBB1_1755:                             ;   Parent Loop BB1_1 Depth=1
                                        ; =>  This Inner Loop Header: Depth=2
	global_load_b64 v[1:2], v0, s[4:5] scope:SCOPE_SYS
	s_wait_loadcnt 0x0
	s_wait_alu 0xfffe
	v_cmp_ne_u64_e32 vcc_lo, s[8:9], v[1:2]
	s_cbranch_vccnz .LBB1_1755
; %bb.1756:                             ;   in Loop: Header=BB1_1 Depth=1
	v_dual_mov_b32 v1, s8 :: v_dual_mov_b32 v2, s9
	s_add_co_i32 s8, s2, 0x36e
	s_mov_b32 s9, s3
	global_store_b64 v0, v[1:2], s[6:7] scope:SCOPE_SYS
.LBB1_1757:                             ;   Parent Loop BB1_1 Depth=1
                                        ; =>  This Inner Loop Header: Depth=2
	global_load_b64 v[1:2], v0, s[4:5] scope:SCOPE_SYS
	s_wait_loadcnt 0x0
	s_wait_alu 0xfffe
	v_cmp_ne_u64_e32 vcc_lo, s[8:9], v[1:2]
	s_cbranch_vccnz .LBB1_1757
; %bb.1758:                             ;   in Loop: Header=BB1_1 Depth=1
	v_dual_mov_b32 v1, s8 :: v_dual_mov_b32 v2, s9
	s_add_co_i32 s8, s2, 0x36f
	s_mov_b32 s9, s3
	global_store_b64 v0, v[1:2], s[6:7] scope:SCOPE_SYS
.LBB1_1759:                             ;   Parent Loop BB1_1 Depth=1
                                        ; =>  This Inner Loop Header: Depth=2
	global_load_b64 v[1:2], v0, s[4:5] scope:SCOPE_SYS
	s_wait_loadcnt 0x0
	s_wait_alu 0xfffe
	v_cmp_ne_u64_e32 vcc_lo, s[8:9], v[1:2]
	s_cbranch_vccnz .LBB1_1759
; %bb.1760:                             ;   in Loop: Header=BB1_1 Depth=1
	v_dual_mov_b32 v1, s8 :: v_dual_mov_b32 v2, s9
	s_add_co_i32 s8, s2, 0x370
	s_mov_b32 s9, s3
	global_store_b64 v0, v[1:2], s[6:7] scope:SCOPE_SYS
.LBB1_1761:                             ;   Parent Loop BB1_1 Depth=1
                                        ; =>  This Inner Loop Header: Depth=2
	global_load_b64 v[1:2], v0, s[4:5] scope:SCOPE_SYS
	s_wait_loadcnt 0x0
	s_wait_alu 0xfffe
	v_cmp_ne_u64_e32 vcc_lo, s[8:9], v[1:2]
	s_cbranch_vccnz .LBB1_1761
; %bb.1762:                             ;   in Loop: Header=BB1_1 Depth=1
	v_dual_mov_b32 v1, s8 :: v_dual_mov_b32 v2, s9
	s_add_co_i32 s8, s2, 0x371
	s_mov_b32 s9, s3
	global_store_b64 v0, v[1:2], s[6:7] scope:SCOPE_SYS
.LBB1_1763:                             ;   Parent Loop BB1_1 Depth=1
                                        ; =>  This Inner Loop Header: Depth=2
	global_load_b64 v[1:2], v0, s[4:5] scope:SCOPE_SYS
	s_wait_loadcnt 0x0
	s_wait_alu 0xfffe
	v_cmp_ne_u64_e32 vcc_lo, s[8:9], v[1:2]
	s_cbranch_vccnz .LBB1_1763
; %bb.1764:                             ;   in Loop: Header=BB1_1 Depth=1
	v_dual_mov_b32 v1, s8 :: v_dual_mov_b32 v2, s9
	s_add_co_i32 s8, s2, 0x372
	s_mov_b32 s9, s3
	global_store_b64 v0, v[1:2], s[6:7] scope:SCOPE_SYS
.LBB1_1765:                             ;   Parent Loop BB1_1 Depth=1
                                        ; =>  This Inner Loop Header: Depth=2
	global_load_b64 v[1:2], v0, s[4:5] scope:SCOPE_SYS
	s_wait_loadcnt 0x0
	s_wait_alu 0xfffe
	v_cmp_ne_u64_e32 vcc_lo, s[8:9], v[1:2]
	s_cbranch_vccnz .LBB1_1765
; %bb.1766:                             ;   in Loop: Header=BB1_1 Depth=1
	v_dual_mov_b32 v1, s8 :: v_dual_mov_b32 v2, s9
	s_add_co_i32 s8, s2, 0x373
	s_mov_b32 s9, s3
	global_store_b64 v0, v[1:2], s[6:7] scope:SCOPE_SYS
.LBB1_1767:                             ;   Parent Loop BB1_1 Depth=1
                                        ; =>  This Inner Loop Header: Depth=2
	global_load_b64 v[1:2], v0, s[4:5] scope:SCOPE_SYS
	s_wait_loadcnt 0x0
	s_wait_alu 0xfffe
	v_cmp_ne_u64_e32 vcc_lo, s[8:9], v[1:2]
	s_cbranch_vccnz .LBB1_1767
; %bb.1768:                             ;   in Loop: Header=BB1_1 Depth=1
	v_dual_mov_b32 v1, s8 :: v_dual_mov_b32 v2, s9
	s_add_co_i32 s8, s2, 0x374
	s_mov_b32 s9, s3
	global_store_b64 v0, v[1:2], s[6:7] scope:SCOPE_SYS
.LBB1_1769:                             ;   Parent Loop BB1_1 Depth=1
                                        ; =>  This Inner Loop Header: Depth=2
	global_load_b64 v[1:2], v0, s[4:5] scope:SCOPE_SYS
	s_wait_loadcnt 0x0
	s_wait_alu 0xfffe
	v_cmp_ne_u64_e32 vcc_lo, s[8:9], v[1:2]
	s_cbranch_vccnz .LBB1_1769
; %bb.1770:                             ;   in Loop: Header=BB1_1 Depth=1
	v_dual_mov_b32 v1, s8 :: v_dual_mov_b32 v2, s9
	s_add_co_i32 s8, s2, 0x375
	s_mov_b32 s9, s3
	global_store_b64 v0, v[1:2], s[6:7] scope:SCOPE_SYS
.LBB1_1771:                             ;   Parent Loop BB1_1 Depth=1
                                        ; =>  This Inner Loop Header: Depth=2
	global_load_b64 v[1:2], v0, s[4:5] scope:SCOPE_SYS
	s_wait_loadcnt 0x0
	s_wait_alu 0xfffe
	v_cmp_ne_u64_e32 vcc_lo, s[8:9], v[1:2]
	s_cbranch_vccnz .LBB1_1771
; %bb.1772:                             ;   in Loop: Header=BB1_1 Depth=1
	v_dual_mov_b32 v1, s8 :: v_dual_mov_b32 v2, s9
	s_add_co_i32 s8, s2, 0x376
	s_mov_b32 s9, s3
	global_store_b64 v0, v[1:2], s[6:7] scope:SCOPE_SYS
.LBB1_1773:                             ;   Parent Loop BB1_1 Depth=1
                                        ; =>  This Inner Loop Header: Depth=2
	global_load_b64 v[1:2], v0, s[4:5] scope:SCOPE_SYS
	s_wait_loadcnt 0x0
	s_wait_alu 0xfffe
	v_cmp_ne_u64_e32 vcc_lo, s[8:9], v[1:2]
	s_cbranch_vccnz .LBB1_1773
; %bb.1774:                             ;   in Loop: Header=BB1_1 Depth=1
	v_dual_mov_b32 v1, s8 :: v_dual_mov_b32 v2, s9
	s_add_co_i32 s8, s2, 0x377
	s_mov_b32 s9, s3
	global_store_b64 v0, v[1:2], s[6:7] scope:SCOPE_SYS
.LBB1_1775:                             ;   Parent Loop BB1_1 Depth=1
                                        ; =>  This Inner Loop Header: Depth=2
	global_load_b64 v[1:2], v0, s[4:5] scope:SCOPE_SYS
	s_wait_loadcnt 0x0
	s_wait_alu 0xfffe
	v_cmp_ne_u64_e32 vcc_lo, s[8:9], v[1:2]
	s_cbranch_vccnz .LBB1_1775
; %bb.1776:                             ;   in Loop: Header=BB1_1 Depth=1
	v_dual_mov_b32 v1, s8 :: v_dual_mov_b32 v2, s9
	s_add_co_i32 s8, s2, 0x378
	s_mov_b32 s9, s3
	global_store_b64 v0, v[1:2], s[6:7] scope:SCOPE_SYS
.LBB1_1777:                             ;   Parent Loop BB1_1 Depth=1
                                        ; =>  This Inner Loop Header: Depth=2
	global_load_b64 v[1:2], v0, s[4:5] scope:SCOPE_SYS
	s_wait_loadcnt 0x0
	s_wait_alu 0xfffe
	v_cmp_ne_u64_e32 vcc_lo, s[8:9], v[1:2]
	s_cbranch_vccnz .LBB1_1777
; %bb.1778:                             ;   in Loop: Header=BB1_1 Depth=1
	v_dual_mov_b32 v1, s8 :: v_dual_mov_b32 v2, s9
	s_add_co_i32 s8, s2, 0x379
	s_mov_b32 s9, s3
	global_store_b64 v0, v[1:2], s[6:7] scope:SCOPE_SYS
.LBB1_1779:                             ;   Parent Loop BB1_1 Depth=1
                                        ; =>  This Inner Loop Header: Depth=2
	global_load_b64 v[1:2], v0, s[4:5] scope:SCOPE_SYS
	s_wait_loadcnt 0x0
	s_wait_alu 0xfffe
	v_cmp_ne_u64_e32 vcc_lo, s[8:9], v[1:2]
	s_cbranch_vccnz .LBB1_1779
; %bb.1780:                             ;   in Loop: Header=BB1_1 Depth=1
	v_dual_mov_b32 v1, s8 :: v_dual_mov_b32 v2, s9
	s_add_co_i32 s8, s2, 0x37a
	s_mov_b32 s9, s3
	global_store_b64 v0, v[1:2], s[6:7] scope:SCOPE_SYS
.LBB1_1781:                             ;   Parent Loop BB1_1 Depth=1
                                        ; =>  This Inner Loop Header: Depth=2
	global_load_b64 v[1:2], v0, s[4:5] scope:SCOPE_SYS
	s_wait_loadcnt 0x0
	s_wait_alu 0xfffe
	v_cmp_ne_u64_e32 vcc_lo, s[8:9], v[1:2]
	s_cbranch_vccnz .LBB1_1781
; %bb.1782:                             ;   in Loop: Header=BB1_1 Depth=1
	v_dual_mov_b32 v1, s8 :: v_dual_mov_b32 v2, s9
	s_add_co_i32 s8, s2, 0x37b
	s_mov_b32 s9, s3
	global_store_b64 v0, v[1:2], s[6:7] scope:SCOPE_SYS
.LBB1_1783:                             ;   Parent Loop BB1_1 Depth=1
                                        ; =>  This Inner Loop Header: Depth=2
	global_load_b64 v[1:2], v0, s[4:5] scope:SCOPE_SYS
	s_wait_loadcnt 0x0
	s_wait_alu 0xfffe
	v_cmp_ne_u64_e32 vcc_lo, s[8:9], v[1:2]
	s_cbranch_vccnz .LBB1_1783
; %bb.1784:                             ;   in Loop: Header=BB1_1 Depth=1
	v_dual_mov_b32 v1, s8 :: v_dual_mov_b32 v2, s9
	s_add_co_i32 s8, s2, 0x37c
	s_mov_b32 s9, s3
	global_store_b64 v0, v[1:2], s[6:7] scope:SCOPE_SYS
.LBB1_1785:                             ;   Parent Loop BB1_1 Depth=1
                                        ; =>  This Inner Loop Header: Depth=2
	global_load_b64 v[1:2], v0, s[4:5] scope:SCOPE_SYS
	s_wait_loadcnt 0x0
	s_wait_alu 0xfffe
	v_cmp_ne_u64_e32 vcc_lo, s[8:9], v[1:2]
	s_cbranch_vccnz .LBB1_1785
; %bb.1786:                             ;   in Loop: Header=BB1_1 Depth=1
	v_dual_mov_b32 v1, s8 :: v_dual_mov_b32 v2, s9
	s_add_co_i32 s8, s2, 0x37d
	s_mov_b32 s9, s3
	global_store_b64 v0, v[1:2], s[6:7] scope:SCOPE_SYS
.LBB1_1787:                             ;   Parent Loop BB1_1 Depth=1
                                        ; =>  This Inner Loop Header: Depth=2
	global_load_b64 v[1:2], v0, s[4:5] scope:SCOPE_SYS
	s_wait_loadcnt 0x0
	s_wait_alu 0xfffe
	v_cmp_ne_u64_e32 vcc_lo, s[8:9], v[1:2]
	s_cbranch_vccnz .LBB1_1787
; %bb.1788:                             ;   in Loop: Header=BB1_1 Depth=1
	v_dual_mov_b32 v1, s8 :: v_dual_mov_b32 v2, s9
	s_add_co_i32 s8, s2, 0x37e
	s_mov_b32 s9, s3
	global_store_b64 v0, v[1:2], s[6:7] scope:SCOPE_SYS
.LBB1_1789:                             ;   Parent Loop BB1_1 Depth=1
                                        ; =>  This Inner Loop Header: Depth=2
	global_load_b64 v[1:2], v0, s[4:5] scope:SCOPE_SYS
	s_wait_loadcnt 0x0
	s_wait_alu 0xfffe
	v_cmp_ne_u64_e32 vcc_lo, s[8:9], v[1:2]
	s_cbranch_vccnz .LBB1_1789
; %bb.1790:                             ;   in Loop: Header=BB1_1 Depth=1
	v_dual_mov_b32 v1, s8 :: v_dual_mov_b32 v2, s9
	s_add_co_i32 s8, s2, 0x37f
	s_mov_b32 s9, s3
	global_store_b64 v0, v[1:2], s[6:7] scope:SCOPE_SYS
.LBB1_1791:                             ;   Parent Loop BB1_1 Depth=1
                                        ; =>  This Inner Loop Header: Depth=2
	global_load_b64 v[1:2], v0, s[4:5] scope:SCOPE_SYS
	s_wait_loadcnt 0x0
	s_wait_alu 0xfffe
	v_cmp_ne_u64_e32 vcc_lo, s[8:9], v[1:2]
	s_cbranch_vccnz .LBB1_1791
; %bb.1792:                             ;   in Loop: Header=BB1_1 Depth=1
	v_dual_mov_b32 v1, s8 :: v_dual_mov_b32 v2, s9
	s_add_co_i32 s8, s2, 0x380
	s_mov_b32 s9, s3
	global_store_b64 v0, v[1:2], s[6:7] scope:SCOPE_SYS
.LBB1_1793:                             ;   Parent Loop BB1_1 Depth=1
                                        ; =>  This Inner Loop Header: Depth=2
	global_load_b64 v[1:2], v0, s[4:5] scope:SCOPE_SYS
	s_wait_loadcnt 0x0
	s_wait_alu 0xfffe
	v_cmp_ne_u64_e32 vcc_lo, s[8:9], v[1:2]
	s_cbranch_vccnz .LBB1_1793
; %bb.1794:                             ;   in Loop: Header=BB1_1 Depth=1
	v_dual_mov_b32 v1, s8 :: v_dual_mov_b32 v2, s9
	s_add_co_i32 s8, s2, 0x381
	s_mov_b32 s9, s3
	global_store_b64 v0, v[1:2], s[6:7] scope:SCOPE_SYS
.LBB1_1795:                             ;   Parent Loop BB1_1 Depth=1
                                        ; =>  This Inner Loop Header: Depth=2
	global_load_b64 v[1:2], v0, s[4:5] scope:SCOPE_SYS
	s_wait_loadcnt 0x0
	s_wait_alu 0xfffe
	v_cmp_ne_u64_e32 vcc_lo, s[8:9], v[1:2]
	s_cbranch_vccnz .LBB1_1795
; %bb.1796:                             ;   in Loop: Header=BB1_1 Depth=1
	v_dual_mov_b32 v1, s8 :: v_dual_mov_b32 v2, s9
	s_add_co_i32 s8, s2, 0x382
	s_mov_b32 s9, s3
	global_store_b64 v0, v[1:2], s[6:7] scope:SCOPE_SYS
.LBB1_1797:                             ;   Parent Loop BB1_1 Depth=1
                                        ; =>  This Inner Loop Header: Depth=2
	global_load_b64 v[1:2], v0, s[4:5] scope:SCOPE_SYS
	s_wait_loadcnt 0x0
	s_wait_alu 0xfffe
	v_cmp_ne_u64_e32 vcc_lo, s[8:9], v[1:2]
	s_cbranch_vccnz .LBB1_1797
; %bb.1798:                             ;   in Loop: Header=BB1_1 Depth=1
	v_dual_mov_b32 v1, s8 :: v_dual_mov_b32 v2, s9
	s_add_co_i32 s8, s2, 0x383
	s_mov_b32 s9, s3
	global_store_b64 v0, v[1:2], s[6:7] scope:SCOPE_SYS
.LBB1_1799:                             ;   Parent Loop BB1_1 Depth=1
                                        ; =>  This Inner Loop Header: Depth=2
	global_load_b64 v[1:2], v0, s[4:5] scope:SCOPE_SYS
	s_wait_loadcnt 0x0
	s_wait_alu 0xfffe
	v_cmp_ne_u64_e32 vcc_lo, s[8:9], v[1:2]
	s_cbranch_vccnz .LBB1_1799
; %bb.1800:                             ;   in Loop: Header=BB1_1 Depth=1
	v_dual_mov_b32 v1, s8 :: v_dual_mov_b32 v2, s9
	s_add_co_i32 s8, s2, 0x384
	s_mov_b32 s9, s3
	global_store_b64 v0, v[1:2], s[6:7] scope:SCOPE_SYS
.LBB1_1801:                             ;   Parent Loop BB1_1 Depth=1
                                        ; =>  This Inner Loop Header: Depth=2
	global_load_b64 v[1:2], v0, s[4:5] scope:SCOPE_SYS
	s_wait_loadcnt 0x0
	s_wait_alu 0xfffe
	v_cmp_ne_u64_e32 vcc_lo, s[8:9], v[1:2]
	s_cbranch_vccnz .LBB1_1801
; %bb.1802:                             ;   in Loop: Header=BB1_1 Depth=1
	v_dual_mov_b32 v1, s8 :: v_dual_mov_b32 v2, s9
	s_add_co_i32 s8, s2, 0x385
	s_mov_b32 s9, s3
	global_store_b64 v0, v[1:2], s[6:7] scope:SCOPE_SYS
.LBB1_1803:                             ;   Parent Loop BB1_1 Depth=1
                                        ; =>  This Inner Loop Header: Depth=2
	global_load_b64 v[1:2], v0, s[4:5] scope:SCOPE_SYS
	s_wait_loadcnt 0x0
	s_wait_alu 0xfffe
	v_cmp_ne_u64_e32 vcc_lo, s[8:9], v[1:2]
	s_cbranch_vccnz .LBB1_1803
; %bb.1804:                             ;   in Loop: Header=BB1_1 Depth=1
	v_dual_mov_b32 v1, s8 :: v_dual_mov_b32 v2, s9
	s_add_co_i32 s8, s2, 0x386
	s_mov_b32 s9, s3
	global_store_b64 v0, v[1:2], s[6:7] scope:SCOPE_SYS
.LBB1_1805:                             ;   Parent Loop BB1_1 Depth=1
                                        ; =>  This Inner Loop Header: Depth=2
	global_load_b64 v[1:2], v0, s[4:5] scope:SCOPE_SYS
	s_wait_loadcnt 0x0
	s_wait_alu 0xfffe
	v_cmp_ne_u64_e32 vcc_lo, s[8:9], v[1:2]
	s_cbranch_vccnz .LBB1_1805
; %bb.1806:                             ;   in Loop: Header=BB1_1 Depth=1
	v_dual_mov_b32 v1, s8 :: v_dual_mov_b32 v2, s9
	s_add_co_i32 s8, s2, 0x387
	s_mov_b32 s9, s3
	global_store_b64 v0, v[1:2], s[6:7] scope:SCOPE_SYS
.LBB1_1807:                             ;   Parent Loop BB1_1 Depth=1
                                        ; =>  This Inner Loop Header: Depth=2
	global_load_b64 v[1:2], v0, s[4:5] scope:SCOPE_SYS
	s_wait_loadcnt 0x0
	s_wait_alu 0xfffe
	v_cmp_ne_u64_e32 vcc_lo, s[8:9], v[1:2]
	s_cbranch_vccnz .LBB1_1807
; %bb.1808:                             ;   in Loop: Header=BB1_1 Depth=1
	v_dual_mov_b32 v1, s8 :: v_dual_mov_b32 v2, s9
	s_add_co_i32 s8, s2, 0x388
	s_mov_b32 s9, s3
	global_store_b64 v0, v[1:2], s[6:7] scope:SCOPE_SYS
.LBB1_1809:                             ;   Parent Loop BB1_1 Depth=1
                                        ; =>  This Inner Loop Header: Depth=2
	global_load_b64 v[1:2], v0, s[4:5] scope:SCOPE_SYS
	s_wait_loadcnt 0x0
	s_wait_alu 0xfffe
	v_cmp_ne_u64_e32 vcc_lo, s[8:9], v[1:2]
	s_cbranch_vccnz .LBB1_1809
; %bb.1810:                             ;   in Loop: Header=BB1_1 Depth=1
	v_dual_mov_b32 v1, s8 :: v_dual_mov_b32 v2, s9
	s_add_co_i32 s8, s2, 0x389
	s_mov_b32 s9, s3
	global_store_b64 v0, v[1:2], s[6:7] scope:SCOPE_SYS
.LBB1_1811:                             ;   Parent Loop BB1_1 Depth=1
                                        ; =>  This Inner Loop Header: Depth=2
	global_load_b64 v[1:2], v0, s[4:5] scope:SCOPE_SYS
	s_wait_loadcnt 0x0
	s_wait_alu 0xfffe
	v_cmp_ne_u64_e32 vcc_lo, s[8:9], v[1:2]
	s_cbranch_vccnz .LBB1_1811
; %bb.1812:                             ;   in Loop: Header=BB1_1 Depth=1
	v_dual_mov_b32 v1, s8 :: v_dual_mov_b32 v2, s9
	s_add_co_i32 s8, s2, 0x38a
	s_mov_b32 s9, s3
	global_store_b64 v0, v[1:2], s[6:7] scope:SCOPE_SYS
.LBB1_1813:                             ;   Parent Loop BB1_1 Depth=1
                                        ; =>  This Inner Loop Header: Depth=2
	global_load_b64 v[1:2], v0, s[4:5] scope:SCOPE_SYS
	s_wait_loadcnt 0x0
	s_wait_alu 0xfffe
	v_cmp_ne_u64_e32 vcc_lo, s[8:9], v[1:2]
	s_cbranch_vccnz .LBB1_1813
; %bb.1814:                             ;   in Loop: Header=BB1_1 Depth=1
	v_dual_mov_b32 v1, s8 :: v_dual_mov_b32 v2, s9
	s_add_co_i32 s8, s2, 0x38b
	s_mov_b32 s9, s3
	global_store_b64 v0, v[1:2], s[6:7] scope:SCOPE_SYS
.LBB1_1815:                             ;   Parent Loop BB1_1 Depth=1
                                        ; =>  This Inner Loop Header: Depth=2
	global_load_b64 v[1:2], v0, s[4:5] scope:SCOPE_SYS
	s_wait_loadcnt 0x0
	s_wait_alu 0xfffe
	v_cmp_ne_u64_e32 vcc_lo, s[8:9], v[1:2]
	s_cbranch_vccnz .LBB1_1815
; %bb.1816:                             ;   in Loop: Header=BB1_1 Depth=1
	v_dual_mov_b32 v1, s8 :: v_dual_mov_b32 v2, s9
	s_add_co_i32 s8, s2, 0x38c
	s_mov_b32 s9, s3
	global_store_b64 v0, v[1:2], s[6:7] scope:SCOPE_SYS
.LBB1_1817:                             ;   Parent Loop BB1_1 Depth=1
                                        ; =>  This Inner Loop Header: Depth=2
	global_load_b64 v[1:2], v0, s[4:5] scope:SCOPE_SYS
	s_wait_loadcnt 0x0
	s_wait_alu 0xfffe
	v_cmp_ne_u64_e32 vcc_lo, s[8:9], v[1:2]
	s_cbranch_vccnz .LBB1_1817
; %bb.1818:                             ;   in Loop: Header=BB1_1 Depth=1
	v_dual_mov_b32 v1, s8 :: v_dual_mov_b32 v2, s9
	s_add_co_i32 s8, s2, 0x38d
	s_mov_b32 s9, s3
	global_store_b64 v0, v[1:2], s[6:7] scope:SCOPE_SYS
.LBB1_1819:                             ;   Parent Loop BB1_1 Depth=1
                                        ; =>  This Inner Loop Header: Depth=2
	global_load_b64 v[1:2], v0, s[4:5] scope:SCOPE_SYS
	s_wait_loadcnt 0x0
	s_wait_alu 0xfffe
	v_cmp_ne_u64_e32 vcc_lo, s[8:9], v[1:2]
	s_cbranch_vccnz .LBB1_1819
; %bb.1820:                             ;   in Loop: Header=BB1_1 Depth=1
	v_dual_mov_b32 v1, s8 :: v_dual_mov_b32 v2, s9
	s_add_co_i32 s8, s2, 0x38e
	s_mov_b32 s9, s3
	global_store_b64 v0, v[1:2], s[6:7] scope:SCOPE_SYS
.LBB1_1821:                             ;   Parent Loop BB1_1 Depth=1
                                        ; =>  This Inner Loop Header: Depth=2
	global_load_b64 v[1:2], v0, s[4:5] scope:SCOPE_SYS
	s_wait_loadcnt 0x0
	s_wait_alu 0xfffe
	v_cmp_ne_u64_e32 vcc_lo, s[8:9], v[1:2]
	s_cbranch_vccnz .LBB1_1821
; %bb.1822:                             ;   in Loop: Header=BB1_1 Depth=1
	v_dual_mov_b32 v1, s8 :: v_dual_mov_b32 v2, s9
	s_add_co_i32 s8, s2, 0x38f
	s_mov_b32 s9, s3
	global_store_b64 v0, v[1:2], s[6:7] scope:SCOPE_SYS
.LBB1_1823:                             ;   Parent Loop BB1_1 Depth=1
                                        ; =>  This Inner Loop Header: Depth=2
	global_load_b64 v[1:2], v0, s[4:5] scope:SCOPE_SYS
	s_wait_loadcnt 0x0
	s_wait_alu 0xfffe
	v_cmp_ne_u64_e32 vcc_lo, s[8:9], v[1:2]
	s_cbranch_vccnz .LBB1_1823
; %bb.1824:                             ;   in Loop: Header=BB1_1 Depth=1
	v_dual_mov_b32 v1, s8 :: v_dual_mov_b32 v2, s9
	s_add_co_i32 s8, s2, 0x390
	s_mov_b32 s9, s3
	global_store_b64 v0, v[1:2], s[6:7] scope:SCOPE_SYS
.LBB1_1825:                             ;   Parent Loop BB1_1 Depth=1
                                        ; =>  This Inner Loop Header: Depth=2
	global_load_b64 v[1:2], v0, s[4:5] scope:SCOPE_SYS
	s_wait_loadcnt 0x0
	s_wait_alu 0xfffe
	v_cmp_ne_u64_e32 vcc_lo, s[8:9], v[1:2]
	s_cbranch_vccnz .LBB1_1825
; %bb.1826:                             ;   in Loop: Header=BB1_1 Depth=1
	v_dual_mov_b32 v1, s8 :: v_dual_mov_b32 v2, s9
	s_add_co_i32 s8, s2, 0x391
	s_mov_b32 s9, s3
	global_store_b64 v0, v[1:2], s[6:7] scope:SCOPE_SYS
.LBB1_1827:                             ;   Parent Loop BB1_1 Depth=1
                                        ; =>  This Inner Loop Header: Depth=2
	global_load_b64 v[1:2], v0, s[4:5] scope:SCOPE_SYS
	s_wait_loadcnt 0x0
	s_wait_alu 0xfffe
	v_cmp_ne_u64_e32 vcc_lo, s[8:9], v[1:2]
	s_cbranch_vccnz .LBB1_1827
; %bb.1828:                             ;   in Loop: Header=BB1_1 Depth=1
	v_dual_mov_b32 v1, s8 :: v_dual_mov_b32 v2, s9
	s_add_co_i32 s8, s2, 0x392
	s_mov_b32 s9, s3
	global_store_b64 v0, v[1:2], s[6:7] scope:SCOPE_SYS
.LBB1_1829:                             ;   Parent Loop BB1_1 Depth=1
                                        ; =>  This Inner Loop Header: Depth=2
	global_load_b64 v[1:2], v0, s[4:5] scope:SCOPE_SYS
	s_wait_loadcnt 0x0
	s_wait_alu 0xfffe
	v_cmp_ne_u64_e32 vcc_lo, s[8:9], v[1:2]
	s_cbranch_vccnz .LBB1_1829
; %bb.1830:                             ;   in Loop: Header=BB1_1 Depth=1
	v_dual_mov_b32 v1, s8 :: v_dual_mov_b32 v2, s9
	s_add_co_i32 s8, s2, 0x393
	s_mov_b32 s9, s3
	global_store_b64 v0, v[1:2], s[6:7] scope:SCOPE_SYS
.LBB1_1831:                             ;   Parent Loop BB1_1 Depth=1
                                        ; =>  This Inner Loop Header: Depth=2
	global_load_b64 v[1:2], v0, s[4:5] scope:SCOPE_SYS
	s_wait_loadcnt 0x0
	s_wait_alu 0xfffe
	v_cmp_ne_u64_e32 vcc_lo, s[8:9], v[1:2]
	s_cbranch_vccnz .LBB1_1831
; %bb.1832:                             ;   in Loop: Header=BB1_1 Depth=1
	v_dual_mov_b32 v1, s8 :: v_dual_mov_b32 v2, s9
	s_add_co_i32 s8, s2, 0x394
	s_mov_b32 s9, s3
	global_store_b64 v0, v[1:2], s[6:7] scope:SCOPE_SYS
.LBB1_1833:                             ;   Parent Loop BB1_1 Depth=1
                                        ; =>  This Inner Loop Header: Depth=2
	global_load_b64 v[1:2], v0, s[4:5] scope:SCOPE_SYS
	s_wait_loadcnt 0x0
	s_wait_alu 0xfffe
	v_cmp_ne_u64_e32 vcc_lo, s[8:9], v[1:2]
	s_cbranch_vccnz .LBB1_1833
; %bb.1834:                             ;   in Loop: Header=BB1_1 Depth=1
	v_dual_mov_b32 v1, s8 :: v_dual_mov_b32 v2, s9
	s_add_co_i32 s8, s2, 0x395
	s_mov_b32 s9, s3
	global_store_b64 v0, v[1:2], s[6:7] scope:SCOPE_SYS
.LBB1_1835:                             ;   Parent Loop BB1_1 Depth=1
                                        ; =>  This Inner Loop Header: Depth=2
	global_load_b64 v[1:2], v0, s[4:5] scope:SCOPE_SYS
	s_wait_loadcnt 0x0
	s_wait_alu 0xfffe
	v_cmp_ne_u64_e32 vcc_lo, s[8:9], v[1:2]
	s_cbranch_vccnz .LBB1_1835
; %bb.1836:                             ;   in Loop: Header=BB1_1 Depth=1
	v_dual_mov_b32 v1, s8 :: v_dual_mov_b32 v2, s9
	s_add_co_i32 s8, s2, 0x396
	s_mov_b32 s9, s3
	global_store_b64 v0, v[1:2], s[6:7] scope:SCOPE_SYS
.LBB1_1837:                             ;   Parent Loop BB1_1 Depth=1
                                        ; =>  This Inner Loop Header: Depth=2
	global_load_b64 v[1:2], v0, s[4:5] scope:SCOPE_SYS
	s_wait_loadcnt 0x0
	s_wait_alu 0xfffe
	v_cmp_ne_u64_e32 vcc_lo, s[8:9], v[1:2]
	s_cbranch_vccnz .LBB1_1837
; %bb.1838:                             ;   in Loop: Header=BB1_1 Depth=1
	v_dual_mov_b32 v1, s8 :: v_dual_mov_b32 v2, s9
	s_add_co_i32 s8, s2, 0x397
	s_mov_b32 s9, s3
	global_store_b64 v0, v[1:2], s[6:7] scope:SCOPE_SYS
.LBB1_1839:                             ;   Parent Loop BB1_1 Depth=1
                                        ; =>  This Inner Loop Header: Depth=2
	global_load_b64 v[1:2], v0, s[4:5] scope:SCOPE_SYS
	s_wait_loadcnt 0x0
	s_wait_alu 0xfffe
	v_cmp_ne_u64_e32 vcc_lo, s[8:9], v[1:2]
	s_cbranch_vccnz .LBB1_1839
; %bb.1840:                             ;   in Loop: Header=BB1_1 Depth=1
	v_dual_mov_b32 v1, s8 :: v_dual_mov_b32 v2, s9
	s_add_co_i32 s8, s2, 0x398
	s_mov_b32 s9, s3
	global_store_b64 v0, v[1:2], s[6:7] scope:SCOPE_SYS
.LBB1_1841:                             ;   Parent Loop BB1_1 Depth=1
                                        ; =>  This Inner Loop Header: Depth=2
	global_load_b64 v[1:2], v0, s[4:5] scope:SCOPE_SYS
	s_wait_loadcnt 0x0
	s_wait_alu 0xfffe
	v_cmp_ne_u64_e32 vcc_lo, s[8:9], v[1:2]
	s_cbranch_vccnz .LBB1_1841
; %bb.1842:                             ;   in Loop: Header=BB1_1 Depth=1
	v_dual_mov_b32 v1, s8 :: v_dual_mov_b32 v2, s9
	s_add_co_i32 s8, s2, 0x399
	s_mov_b32 s9, s3
	global_store_b64 v0, v[1:2], s[6:7] scope:SCOPE_SYS
.LBB1_1843:                             ;   Parent Loop BB1_1 Depth=1
                                        ; =>  This Inner Loop Header: Depth=2
	global_load_b64 v[1:2], v0, s[4:5] scope:SCOPE_SYS
	s_wait_loadcnt 0x0
	s_wait_alu 0xfffe
	v_cmp_ne_u64_e32 vcc_lo, s[8:9], v[1:2]
	s_cbranch_vccnz .LBB1_1843
; %bb.1844:                             ;   in Loop: Header=BB1_1 Depth=1
	v_dual_mov_b32 v1, s8 :: v_dual_mov_b32 v2, s9
	s_add_co_i32 s8, s2, 0x39a
	s_mov_b32 s9, s3
	global_store_b64 v0, v[1:2], s[6:7] scope:SCOPE_SYS
.LBB1_1845:                             ;   Parent Loop BB1_1 Depth=1
                                        ; =>  This Inner Loop Header: Depth=2
	global_load_b64 v[1:2], v0, s[4:5] scope:SCOPE_SYS
	s_wait_loadcnt 0x0
	s_wait_alu 0xfffe
	v_cmp_ne_u64_e32 vcc_lo, s[8:9], v[1:2]
	s_cbranch_vccnz .LBB1_1845
; %bb.1846:                             ;   in Loop: Header=BB1_1 Depth=1
	v_dual_mov_b32 v1, s8 :: v_dual_mov_b32 v2, s9
	s_add_co_i32 s8, s2, 0x39b
	s_mov_b32 s9, s3
	global_store_b64 v0, v[1:2], s[6:7] scope:SCOPE_SYS
.LBB1_1847:                             ;   Parent Loop BB1_1 Depth=1
                                        ; =>  This Inner Loop Header: Depth=2
	global_load_b64 v[1:2], v0, s[4:5] scope:SCOPE_SYS
	s_wait_loadcnt 0x0
	s_wait_alu 0xfffe
	v_cmp_ne_u64_e32 vcc_lo, s[8:9], v[1:2]
	s_cbranch_vccnz .LBB1_1847
; %bb.1848:                             ;   in Loop: Header=BB1_1 Depth=1
	v_dual_mov_b32 v1, s8 :: v_dual_mov_b32 v2, s9
	s_add_co_i32 s8, s2, 0x39c
	s_mov_b32 s9, s3
	global_store_b64 v0, v[1:2], s[6:7] scope:SCOPE_SYS
.LBB1_1849:                             ;   Parent Loop BB1_1 Depth=1
                                        ; =>  This Inner Loop Header: Depth=2
	global_load_b64 v[1:2], v0, s[4:5] scope:SCOPE_SYS
	s_wait_loadcnt 0x0
	s_wait_alu 0xfffe
	v_cmp_ne_u64_e32 vcc_lo, s[8:9], v[1:2]
	s_cbranch_vccnz .LBB1_1849
; %bb.1850:                             ;   in Loop: Header=BB1_1 Depth=1
	v_dual_mov_b32 v1, s8 :: v_dual_mov_b32 v2, s9
	s_add_co_i32 s8, s2, 0x39d
	s_mov_b32 s9, s3
	global_store_b64 v0, v[1:2], s[6:7] scope:SCOPE_SYS
.LBB1_1851:                             ;   Parent Loop BB1_1 Depth=1
                                        ; =>  This Inner Loop Header: Depth=2
	global_load_b64 v[1:2], v0, s[4:5] scope:SCOPE_SYS
	s_wait_loadcnt 0x0
	s_wait_alu 0xfffe
	v_cmp_ne_u64_e32 vcc_lo, s[8:9], v[1:2]
	s_cbranch_vccnz .LBB1_1851
; %bb.1852:                             ;   in Loop: Header=BB1_1 Depth=1
	v_dual_mov_b32 v1, s8 :: v_dual_mov_b32 v2, s9
	s_add_co_i32 s8, s2, 0x39e
	s_mov_b32 s9, s3
	global_store_b64 v0, v[1:2], s[6:7] scope:SCOPE_SYS
.LBB1_1853:                             ;   Parent Loop BB1_1 Depth=1
                                        ; =>  This Inner Loop Header: Depth=2
	global_load_b64 v[1:2], v0, s[4:5] scope:SCOPE_SYS
	s_wait_loadcnt 0x0
	s_wait_alu 0xfffe
	v_cmp_ne_u64_e32 vcc_lo, s[8:9], v[1:2]
	s_cbranch_vccnz .LBB1_1853
; %bb.1854:                             ;   in Loop: Header=BB1_1 Depth=1
	v_dual_mov_b32 v1, s8 :: v_dual_mov_b32 v2, s9
	s_add_co_i32 s8, s2, 0x39f
	s_mov_b32 s9, s3
	global_store_b64 v0, v[1:2], s[6:7] scope:SCOPE_SYS
.LBB1_1855:                             ;   Parent Loop BB1_1 Depth=1
                                        ; =>  This Inner Loop Header: Depth=2
	global_load_b64 v[1:2], v0, s[4:5] scope:SCOPE_SYS
	s_wait_loadcnt 0x0
	s_wait_alu 0xfffe
	v_cmp_ne_u64_e32 vcc_lo, s[8:9], v[1:2]
	s_cbranch_vccnz .LBB1_1855
; %bb.1856:                             ;   in Loop: Header=BB1_1 Depth=1
	v_dual_mov_b32 v1, s8 :: v_dual_mov_b32 v2, s9
	s_add_co_i32 s8, s2, 0x3a0
	s_mov_b32 s9, s3
	global_store_b64 v0, v[1:2], s[6:7] scope:SCOPE_SYS
.LBB1_1857:                             ;   Parent Loop BB1_1 Depth=1
                                        ; =>  This Inner Loop Header: Depth=2
	global_load_b64 v[1:2], v0, s[4:5] scope:SCOPE_SYS
	s_wait_loadcnt 0x0
	s_wait_alu 0xfffe
	v_cmp_ne_u64_e32 vcc_lo, s[8:9], v[1:2]
	s_cbranch_vccnz .LBB1_1857
; %bb.1858:                             ;   in Loop: Header=BB1_1 Depth=1
	v_dual_mov_b32 v1, s8 :: v_dual_mov_b32 v2, s9
	s_add_co_i32 s8, s2, 0x3a1
	s_mov_b32 s9, s3
	global_store_b64 v0, v[1:2], s[6:7] scope:SCOPE_SYS
.LBB1_1859:                             ;   Parent Loop BB1_1 Depth=1
                                        ; =>  This Inner Loop Header: Depth=2
	global_load_b64 v[1:2], v0, s[4:5] scope:SCOPE_SYS
	s_wait_loadcnt 0x0
	s_wait_alu 0xfffe
	v_cmp_ne_u64_e32 vcc_lo, s[8:9], v[1:2]
	s_cbranch_vccnz .LBB1_1859
; %bb.1860:                             ;   in Loop: Header=BB1_1 Depth=1
	v_dual_mov_b32 v1, s8 :: v_dual_mov_b32 v2, s9
	s_add_co_i32 s8, s2, 0x3a2
	s_mov_b32 s9, s3
	global_store_b64 v0, v[1:2], s[6:7] scope:SCOPE_SYS
.LBB1_1861:                             ;   Parent Loop BB1_1 Depth=1
                                        ; =>  This Inner Loop Header: Depth=2
	global_load_b64 v[1:2], v0, s[4:5] scope:SCOPE_SYS
	s_wait_loadcnt 0x0
	s_wait_alu 0xfffe
	v_cmp_ne_u64_e32 vcc_lo, s[8:9], v[1:2]
	s_cbranch_vccnz .LBB1_1861
; %bb.1862:                             ;   in Loop: Header=BB1_1 Depth=1
	v_dual_mov_b32 v1, s8 :: v_dual_mov_b32 v2, s9
	s_add_co_i32 s8, s2, 0x3a3
	s_mov_b32 s9, s3
	global_store_b64 v0, v[1:2], s[6:7] scope:SCOPE_SYS
.LBB1_1863:                             ;   Parent Loop BB1_1 Depth=1
                                        ; =>  This Inner Loop Header: Depth=2
	global_load_b64 v[1:2], v0, s[4:5] scope:SCOPE_SYS
	s_wait_loadcnt 0x0
	s_wait_alu 0xfffe
	v_cmp_ne_u64_e32 vcc_lo, s[8:9], v[1:2]
	s_cbranch_vccnz .LBB1_1863
; %bb.1864:                             ;   in Loop: Header=BB1_1 Depth=1
	v_dual_mov_b32 v1, s8 :: v_dual_mov_b32 v2, s9
	s_add_co_i32 s8, s2, 0x3a4
	s_mov_b32 s9, s3
	global_store_b64 v0, v[1:2], s[6:7] scope:SCOPE_SYS
.LBB1_1865:                             ;   Parent Loop BB1_1 Depth=1
                                        ; =>  This Inner Loop Header: Depth=2
	global_load_b64 v[1:2], v0, s[4:5] scope:SCOPE_SYS
	s_wait_loadcnt 0x0
	s_wait_alu 0xfffe
	v_cmp_ne_u64_e32 vcc_lo, s[8:9], v[1:2]
	s_cbranch_vccnz .LBB1_1865
; %bb.1866:                             ;   in Loop: Header=BB1_1 Depth=1
	v_dual_mov_b32 v1, s8 :: v_dual_mov_b32 v2, s9
	s_add_co_i32 s8, s2, 0x3a5
	s_mov_b32 s9, s3
	global_store_b64 v0, v[1:2], s[6:7] scope:SCOPE_SYS
.LBB1_1867:                             ;   Parent Loop BB1_1 Depth=1
                                        ; =>  This Inner Loop Header: Depth=2
	global_load_b64 v[1:2], v0, s[4:5] scope:SCOPE_SYS
	s_wait_loadcnt 0x0
	s_wait_alu 0xfffe
	v_cmp_ne_u64_e32 vcc_lo, s[8:9], v[1:2]
	s_cbranch_vccnz .LBB1_1867
; %bb.1868:                             ;   in Loop: Header=BB1_1 Depth=1
	v_dual_mov_b32 v1, s8 :: v_dual_mov_b32 v2, s9
	s_add_co_i32 s8, s2, 0x3a6
	s_mov_b32 s9, s3
	global_store_b64 v0, v[1:2], s[6:7] scope:SCOPE_SYS
.LBB1_1869:                             ;   Parent Loop BB1_1 Depth=1
                                        ; =>  This Inner Loop Header: Depth=2
	global_load_b64 v[1:2], v0, s[4:5] scope:SCOPE_SYS
	s_wait_loadcnt 0x0
	s_wait_alu 0xfffe
	v_cmp_ne_u64_e32 vcc_lo, s[8:9], v[1:2]
	s_cbranch_vccnz .LBB1_1869
; %bb.1870:                             ;   in Loop: Header=BB1_1 Depth=1
	v_dual_mov_b32 v1, s8 :: v_dual_mov_b32 v2, s9
	s_add_co_i32 s8, s2, 0x3a7
	s_mov_b32 s9, s3
	global_store_b64 v0, v[1:2], s[6:7] scope:SCOPE_SYS
.LBB1_1871:                             ;   Parent Loop BB1_1 Depth=1
                                        ; =>  This Inner Loop Header: Depth=2
	global_load_b64 v[1:2], v0, s[4:5] scope:SCOPE_SYS
	s_wait_loadcnt 0x0
	s_wait_alu 0xfffe
	v_cmp_ne_u64_e32 vcc_lo, s[8:9], v[1:2]
	s_cbranch_vccnz .LBB1_1871
; %bb.1872:                             ;   in Loop: Header=BB1_1 Depth=1
	v_dual_mov_b32 v1, s8 :: v_dual_mov_b32 v2, s9
	s_add_co_i32 s8, s2, 0x3a8
	s_mov_b32 s9, s3
	global_store_b64 v0, v[1:2], s[6:7] scope:SCOPE_SYS
.LBB1_1873:                             ;   Parent Loop BB1_1 Depth=1
                                        ; =>  This Inner Loop Header: Depth=2
	global_load_b64 v[1:2], v0, s[4:5] scope:SCOPE_SYS
	s_wait_loadcnt 0x0
	s_wait_alu 0xfffe
	v_cmp_ne_u64_e32 vcc_lo, s[8:9], v[1:2]
	s_cbranch_vccnz .LBB1_1873
; %bb.1874:                             ;   in Loop: Header=BB1_1 Depth=1
	v_dual_mov_b32 v1, s8 :: v_dual_mov_b32 v2, s9
	s_add_co_i32 s8, s2, 0x3a9
	s_mov_b32 s9, s3
	global_store_b64 v0, v[1:2], s[6:7] scope:SCOPE_SYS
.LBB1_1875:                             ;   Parent Loop BB1_1 Depth=1
                                        ; =>  This Inner Loop Header: Depth=2
	global_load_b64 v[1:2], v0, s[4:5] scope:SCOPE_SYS
	s_wait_loadcnt 0x0
	s_wait_alu 0xfffe
	v_cmp_ne_u64_e32 vcc_lo, s[8:9], v[1:2]
	s_cbranch_vccnz .LBB1_1875
; %bb.1876:                             ;   in Loop: Header=BB1_1 Depth=1
	v_dual_mov_b32 v1, s8 :: v_dual_mov_b32 v2, s9
	s_add_co_i32 s8, s2, 0x3aa
	s_mov_b32 s9, s3
	global_store_b64 v0, v[1:2], s[6:7] scope:SCOPE_SYS
.LBB1_1877:                             ;   Parent Loop BB1_1 Depth=1
                                        ; =>  This Inner Loop Header: Depth=2
	global_load_b64 v[1:2], v0, s[4:5] scope:SCOPE_SYS
	s_wait_loadcnt 0x0
	s_wait_alu 0xfffe
	v_cmp_ne_u64_e32 vcc_lo, s[8:9], v[1:2]
	s_cbranch_vccnz .LBB1_1877
; %bb.1878:                             ;   in Loop: Header=BB1_1 Depth=1
	v_dual_mov_b32 v1, s8 :: v_dual_mov_b32 v2, s9
	s_add_co_i32 s8, s2, 0x3ab
	s_mov_b32 s9, s3
	global_store_b64 v0, v[1:2], s[6:7] scope:SCOPE_SYS
.LBB1_1879:                             ;   Parent Loop BB1_1 Depth=1
                                        ; =>  This Inner Loop Header: Depth=2
	global_load_b64 v[1:2], v0, s[4:5] scope:SCOPE_SYS
	s_wait_loadcnt 0x0
	s_wait_alu 0xfffe
	v_cmp_ne_u64_e32 vcc_lo, s[8:9], v[1:2]
	s_cbranch_vccnz .LBB1_1879
; %bb.1880:                             ;   in Loop: Header=BB1_1 Depth=1
	v_dual_mov_b32 v1, s8 :: v_dual_mov_b32 v2, s9
	s_add_co_i32 s8, s2, 0x3ac
	s_mov_b32 s9, s3
	global_store_b64 v0, v[1:2], s[6:7] scope:SCOPE_SYS
.LBB1_1881:                             ;   Parent Loop BB1_1 Depth=1
                                        ; =>  This Inner Loop Header: Depth=2
	global_load_b64 v[1:2], v0, s[4:5] scope:SCOPE_SYS
	s_wait_loadcnt 0x0
	s_wait_alu 0xfffe
	v_cmp_ne_u64_e32 vcc_lo, s[8:9], v[1:2]
	s_cbranch_vccnz .LBB1_1881
; %bb.1882:                             ;   in Loop: Header=BB1_1 Depth=1
	v_dual_mov_b32 v1, s8 :: v_dual_mov_b32 v2, s9
	s_add_co_i32 s8, s2, 0x3ad
	s_mov_b32 s9, s3
	global_store_b64 v0, v[1:2], s[6:7] scope:SCOPE_SYS
.LBB1_1883:                             ;   Parent Loop BB1_1 Depth=1
                                        ; =>  This Inner Loop Header: Depth=2
	global_load_b64 v[1:2], v0, s[4:5] scope:SCOPE_SYS
	s_wait_loadcnt 0x0
	s_wait_alu 0xfffe
	v_cmp_ne_u64_e32 vcc_lo, s[8:9], v[1:2]
	s_cbranch_vccnz .LBB1_1883
; %bb.1884:                             ;   in Loop: Header=BB1_1 Depth=1
	v_dual_mov_b32 v1, s8 :: v_dual_mov_b32 v2, s9
	s_add_co_i32 s8, s2, 0x3ae
	s_mov_b32 s9, s3
	global_store_b64 v0, v[1:2], s[6:7] scope:SCOPE_SYS
.LBB1_1885:                             ;   Parent Loop BB1_1 Depth=1
                                        ; =>  This Inner Loop Header: Depth=2
	global_load_b64 v[1:2], v0, s[4:5] scope:SCOPE_SYS
	s_wait_loadcnt 0x0
	s_wait_alu 0xfffe
	v_cmp_ne_u64_e32 vcc_lo, s[8:9], v[1:2]
	s_cbranch_vccnz .LBB1_1885
; %bb.1886:                             ;   in Loop: Header=BB1_1 Depth=1
	v_dual_mov_b32 v1, s8 :: v_dual_mov_b32 v2, s9
	s_add_co_i32 s8, s2, 0x3af
	s_mov_b32 s9, s3
	global_store_b64 v0, v[1:2], s[6:7] scope:SCOPE_SYS
.LBB1_1887:                             ;   Parent Loop BB1_1 Depth=1
                                        ; =>  This Inner Loop Header: Depth=2
	global_load_b64 v[1:2], v0, s[4:5] scope:SCOPE_SYS
	s_wait_loadcnt 0x0
	s_wait_alu 0xfffe
	v_cmp_ne_u64_e32 vcc_lo, s[8:9], v[1:2]
	s_cbranch_vccnz .LBB1_1887
; %bb.1888:                             ;   in Loop: Header=BB1_1 Depth=1
	v_dual_mov_b32 v1, s8 :: v_dual_mov_b32 v2, s9
	s_add_co_i32 s8, s2, 0x3b0
	s_mov_b32 s9, s3
	global_store_b64 v0, v[1:2], s[6:7] scope:SCOPE_SYS
.LBB1_1889:                             ;   Parent Loop BB1_1 Depth=1
                                        ; =>  This Inner Loop Header: Depth=2
	global_load_b64 v[1:2], v0, s[4:5] scope:SCOPE_SYS
	s_wait_loadcnt 0x0
	s_wait_alu 0xfffe
	v_cmp_ne_u64_e32 vcc_lo, s[8:9], v[1:2]
	s_cbranch_vccnz .LBB1_1889
; %bb.1890:                             ;   in Loop: Header=BB1_1 Depth=1
	v_dual_mov_b32 v1, s8 :: v_dual_mov_b32 v2, s9
	s_add_co_i32 s8, s2, 0x3b1
	s_mov_b32 s9, s3
	global_store_b64 v0, v[1:2], s[6:7] scope:SCOPE_SYS
.LBB1_1891:                             ;   Parent Loop BB1_1 Depth=1
                                        ; =>  This Inner Loop Header: Depth=2
	global_load_b64 v[1:2], v0, s[4:5] scope:SCOPE_SYS
	s_wait_loadcnt 0x0
	s_wait_alu 0xfffe
	v_cmp_ne_u64_e32 vcc_lo, s[8:9], v[1:2]
	s_cbranch_vccnz .LBB1_1891
; %bb.1892:                             ;   in Loop: Header=BB1_1 Depth=1
	v_dual_mov_b32 v1, s8 :: v_dual_mov_b32 v2, s9
	s_add_co_i32 s8, s2, 0x3b2
	s_mov_b32 s9, s3
	global_store_b64 v0, v[1:2], s[6:7] scope:SCOPE_SYS
.LBB1_1893:                             ;   Parent Loop BB1_1 Depth=1
                                        ; =>  This Inner Loop Header: Depth=2
	global_load_b64 v[1:2], v0, s[4:5] scope:SCOPE_SYS
	s_wait_loadcnt 0x0
	s_wait_alu 0xfffe
	v_cmp_ne_u64_e32 vcc_lo, s[8:9], v[1:2]
	s_cbranch_vccnz .LBB1_1893
; %bb.1894:                             ;   in Loop: Header=BB1_1 Depth=1
	v_dual_mov_b32 v1, s8 :: v_dual_mov_b32 v2, s9
	s_add_co_i32 s8, s2, 0x3b3
	s_mov_b32 s9, s3
	global_store_b64 v0, v[1:2], s[6:7] scope:SCOPE_SYS
.LBB1_1895:                             ;   Parent Loop BB1_1 Depth=1
                                        ; =>  This Inner Loop Header: Depth=2
	global_load_b64 v[1:2], v0, s[4:5] scope:SCOPE_SYS
	s_wait_loadcnt 0x0
	s_wait_alu 0xfffe
	v_cmp_ne_u64_e32 vcc_lo, s[8:9], v[1:2]
	s_cbranch_vccnz .LBB1_1895
; %bb.1896:                             ;   in Loop: Header=BB1_1 Depth=1
	v_dual_mov_b32 v1, s8 :: v_dual_mov_b32 v2, s9
	s_add_co_i32 s8, s2, 0x3b4
	s_mov_b32 s9, s3
	global_store_b64 v0, v[1:2], s[6:7] scope:SCOPE_SYS
.LBB1_1897:                             ;   Parent Loop BB1_1 Depth=1
                                        ; =>  This Inner Loop Header: Depth=2
	global_load_b64 v[1:2], v0, s[4:5] scope:SCOPE_SYS
	s_wait_loadcnt 0x0
	s_wait_alu 0xfffe
	v_cmp_ne_u64_e32 vcc_lo, s[8:9], v[1:2]
	s_cbranch_vccnz .LBB1_1897
; %bb.1898:                             ;   in Loop: Header=BB1_1 Depth=1
	v_dual_mov_b32 v1, s8 :: v_dual_mov_b32 v2, s9
	s_add_co_i32 s8, s2, 0x3b5
	s_mov_b32 s9, s3
	global_store_b64 v0, v[1:2], s[6:7] scope:SCOPE_SYS
.LBB1_1899:                             ;   Parent Loop BB1_1 Depth=1
                                        ; =>  This Inner Loop Header: Depth=2
	global_load_b64 v[1:2], v0, s[4:5] scope:SCOPE_SYS
	s_wait_loadcnt 0x0
	s_wait_alu 0xfffe
	v_cmp_ne_u64_e32 vcc_lo, s[8:9], v[1:2]
	s_cbranch_vccnz .LBB1_1899
; %bb.1900:                             ;   in Loop: Header=BB1_1 Depth=1
	v_dual_mov_b32 v1, s8 :: v_dual_mov_b32 v2, s9
	s_add_co_i32 s8, s2, 0x3b6
	s_mov_b32 s9, s3
	global_store_b64 v0, v[1:2], s[6:7] scope:SCOPE_SYS
.LBB1_1901:                             ;   Parent Loop BB1_1 Depth=1
                                        ; =>  This Inner Loop Header: Depth=2
	global_load_b64 v[1:2], v0, s[4:5] scope:SCOPE_SYS
	s_wait_loadcnt 0x0
	s_wait_alu 0xfffe
	v_cmp_ne_u64_e32 vcc_lo, s[8:9], v[1:2]
	s_cbranch_vccnz .LBB1_1901
; %bb.1902:                             ;   in Loop: Header=BB1_1 Depth=1
	v_dual_mov_b32 v1, s8 :: v_dual_mov_b32 v2, s9
	s_add_co_i32 s8, s2, 0x3b7
	s_mov_b32 s9, s3
	global_store_b64 v0, v[1:2], s[6:7] scope:SCOPE_SYS
.LBB1_1903:                             ;   Parent Loop BB1_1 Depth=1
                                        ; =>  This Inner Loop Header: Depth=2
	global_load_b64 v[1:2], v0, s[4:5] scope:SCOPE_SYS
	s_wait_loadcnt 0x0
	s_wait_alu 0xfffe
	v_cmp_ne_u64_e32 vcc_lo, s[8:9], v[1:2]
	s_cbranch_vccnz .LBB1_1903
; %bb.1904:                             ;   in Loop: Header=BB1_1 Depth=1
	v_dual_mov_b32 v1, s8 :: v_dual_mov_b32 v2, s9
	s_add_co_i32 s8, s2, 0x3b8
	s_mov_b32 s9, s3
	global_store_b64 v0, v[1:2], s[6:7] scope:SCOPE_SYS
.LBB1_1905:                             ;   Parent Loop BB1_1 Depth=1
                                        ; =>  This Inner Loop Header: Depth=2
	global_load_b64 v[1:2], v0, s[4:5] scope:SCOPE_SYS
	s_wait_loadcnt 0x0
	s_wait_alu 0xfffe
	v_cmp_ne_u64_e32 vcc_lo, s[8:9], v[1:2]
	s_cbranch_vccnz .LBB1_1905
; %bb.1906:                             ;   in Loop: Header=BB1_1 Depth=1
	v_dual_mov_b32 v1, s8 :: v_dual_mov_b32 v2, s9
	s_add_co_i32 s8, s2, 0x3b9
	s_mov_b32 s9, s3
	global_store_b64 v0, v[1:2], s[6:7] scope:SCOPE_SYS
.LBB1_1907:                             ;   Parent Loop BB1_1 Depth=1
                                        ; =>  This Inner Loop Header: Depth=2
	global_load_b64 v[1:2], v0, s[4:5] scope:SCOPE_SYS
	s_wait_loadcnt 0x0
	s_wait_alu 0xfffe
	v_cmp_ne_u64_e32 vcc_lo, s[8:9], v[1:2]
	s_cbranch_vccnz .LBB1_1907
; %bb.1908:                             ;   in Loop: Header=BB1_1 Depth=1
	v_dual_mov_b32 v1, s8 :: v_dual_mov_b32 v2, s9
	s_add_co_i32 s8, s2, 0x3ba
	s_mov_b32 s9, s3
	global_store_b64 v0, v[1:2], s[6:7] scope:SCOPE_SYS
.LBB1_1909:                             ;   Parent Loop BB1_1 Depth=1
                                        ; =>  This Inner Loop Header: Depth=2
	global_load_b64 v[1:2], v0, s[4:5] scope:SCOPE_SYS
	s_wait_loadcnt 0x0
	s_wait_alu 0xfffe
	v_cmp_ne_u64_e32 vcc_lo, s[8:9], v[1:2]
	s_cbranch_vccnz .LBB1_1909
; %bb.1910:                             ;   in Loop: Header=BB1_1 Depth=1
	v_dual_mov_b32 v1, s8 :: v_dual_mov_b32 v2, s9
	s_add_co_i32 s8, s2, 0x3bb
	s_mov_b32 s9, s3
	global_store_b64 v0, v[1:2], s[6:7] scope:SCOPE_SYS
.LBB1_1911:                             ;   Parent Loop BB1_1 Depth=1
                                        ; =>  This Inner Loop Header: Depth=2
	global_load_b64 v[1:2], v0, s[4:5] scope:SCOPE_SYS
	s_wait_loadcnt 0x0
	s_wait_alu 0xfffe
	v_cmp_ne_u64_e32 vcc_lo, s[8:9], v[1:2]
	s_cbranch_vccnz .LBB1_1911
; %bb.1912:                             ;   in Loop: Header=BB1_1 Depth=1
	v_dual_mov_b32 v1, s8 :: v_dual_mov_b32 v2, s9
	s_add_co_i32 s8, s2, 0x3bc
	s_mov_b32 s9, s3
	global_store_b64 v0, v[1:2], s[6:7] scope:SCOPE_SYS
.LBB1_1913:                             ;   Parent Loop BB1_1 Depth=1
                                        ; =>  This Inner Loop Header: Depth=2
	global_load_b64 v[1:2], v0, s[4:5] scope:SCOPE_SYS
	s_wait_loadcnt 0x0
	s_wait_alu 0xfffe
	v_cmp_ne_u64_e32 vcc_lo, s[8:9], v[1:2]
	s_cbranch_vccnz .LBB1_1913
; %bb.1914:                             ;   in Loop: Header=BB1_1 Depth=1
	v_dual_mov_b32 v1, s8 :: v_dual_mov_b32 v2, s9
	s_add_co_i32 s8, s2, 0x3bd
	s_mov_b32 s9, s3
	global_store_b64 v0, v[1:2], s[6:7] scope:SCOPE_SYS
.LBB1_1915:                             ;   Parent Loop BB1_1 Depth=1
                                        ; =>  This Inner Loop Header: Depth=2
	global_load_b64 v[1:2], v0, s[4:5] scope:SCOPE_SYS
	s_wait_loadcnt 0x0
	s_wait_alu 0xfffe
	v_cmp_ne_u64_e32 vcc_lo, s[8:9], v[1:2]
	s_cbranch_vccnz .LBB1_1915
; %bb.1916:                             ;   in Loop: Header=BB1_1 Depth=1
	v_dual_mov_b32 v1, s8 :: v_dual_mov_b32 v2, s9
	s_add_co_i32 s8, s2, 0x3be
	s_mov_b32 s9, s3
	global_store_b64 v0, v[1:2], s[6:7] scope:SCOPE_SYS
.LBB1_1917:                             ;   Parent Loop BB1_1 Depth=1
                                        ; =>  This Inner Loop Header: Depth=2
	global_load_b64 v[1:2], v0, s[4:5] scope:SCOPE_SYS
	s_wait_loadcnt 0x0
	s_wait_alu 0xfffe
	v_cmp_ne_u64_e32 vcc_lo, s[8:9], v[1:2]
	s_cbranch_vccnz .LBB1_1917
; %bb.1918:                             ;   in Loop: Header=BB1_1 Depth=1
	v_dual_mov_b32 v1, s8 :: v_dual_mov_b32 v2, s9
	s_add_co_i32 s8, s2, 0x3bf
	s_mov_b32 s9, s3
	global_store_b64 v0, v[1:2], s[6:7] scope:SCOPE_SYS
.LBB1_1919:                             ;   Parent Loop BB1_1 Depth=1
                                        ; =>  This Inner Loop Header: Depth=2
	global_load_b64 v[1:2], v0, s[4:5] scope:SCOPE_SYS
	s_wait_loadcnt 0x0
	s_wait_alu 0xfffe
	v_cmp_ne_u64_e32 vcc_lo, s[8:9], v[1:2]
	s_cbranch_vccnz .LBB1_1919
; %bb.1920:                             ;   in Loop: Header=BB1_1 Depth=1
	v_dual_mov_b32 v1, s8 :: v_dual_mov_b32 v2, s9
	s_add_co_i32 s8, s2, 0x3c0
	s_mov_b32 s9, s3
	global_store_b64 v0, v[1:2], s[6:7] scope:SCOPE_SYS
.LBB1_1921:                             ;   Parent Loop BB1_1 Depth=1
                                        ; =>  This Inner Loop Header: Depth=2
	global_load_b64 v[1:2], v0, s[4:5] scope:SCOPE_SYS
	s_wait_loadcnt 0x0
	s_wait_alu 0xfffe
	v_cmp_ne_u64_e32 vcc_lo, s[8:9], v[1:2]
	s_cbranch_vccnz .LBB1_1921
; %bb.1922:                             ;   in Loop: Header=BB1_1 Depth=1
	v_dual_mov_b32 v1, s8 :: v_dual_mov_b32 v2, s9
	s_add_co_i32 s8, s2, 0x3c1
	s_mov_b32 s9, s3
	global_store_b64 v0, v[1:2], s[6:7] scope:SCOPE_SYS
.LBB1_1923:                             ;   Parent Loop BB1_1 Depth=1
                                        ; =>  This Inner Loop Header: Depth=2
	global_load_b64 v[1:2], v0, s[4:5] scope:SCOPE_SYS
	s_wait_loadcnt 0x0
	s_wait_alu 0xfffe
	v_cmp_ne_u64_e32 vcc_lo, s[8:9], v[1:2]
	s_cbranch_vccnz .LBB1_1923
; %bb.1924:                             ;   in Loop: Header=BB1_1 Depth=1
	v_dual_mov_b32 v1, s8 :: v_dual_mov_b32 v2, s9
	s_add_co_i32 s8, s2, 0x3c2
	s_mov_b32 s9, s3
	global_store_b64 v0, v[1:2], s[6:7] scope:SCOPE_SYS
.LBB1_1925:                             ;   Parent Loop BB1_1 Depth=1
                                        ; =>  This Inner Loop Header: Depth=2
	global_load_b64 v[1:2], v0, s[4:5] scope:SCOPE_SYS
	s_wait_loadcnt 0x0
	s_wait_alu 0xfffe
	v_cmp_ne_u64_e32 vcc_lo, s[8:9], v[1:2]
	s_cbranch_vccnz .LBB1_1925
; %bb.1926:                             ;   in Loop: Header=BB1_1 Depth=1
	v_dual_mov_b32 v1, s8 :: v_dual_mov_b32 v2, s9
	s_add_co_i32 s8, s2, 0x3c3
	s_mov_b32 s9, s3
	global_store_b64 v0, v[1:2], s[6:7] scope:SCOPE_SYS
.LBB1_1927:                             ;   Parent Loop BB1_1 Depth=1
                                        ; =>  This Inner Loop Header: Depth=2
	global_load_b64 v[1:2], v0, s[4:5] scope:SCOPE_SYS
	s_wait_loadcnt 0x0
	s_wait_alu 0xfffe
	v_cmp_ne_u64_e32 vcc_lo, s[8:9], v[1:2]
	s_cbranch_vccnz .LBB1_1927
; %bb.1928:                             ;   in Loop: Header=BB1_1 Depth=1
	v_dual_mov_b32 v1, s8 :: v_dual_mov_b32 v2, s9
	s_add_co_i32 s8, s2, 0x3c4
	s_mov_b32 s9, s3
	global_store_b64 v0, v[1:2], s[6:7] scope:SCOPE_SYS
.LBB1_1929:                             ;   Parent Loop BB1_1 Depth=1
                                        ; =>  This Inner Loop Header: Depth=2
	global_load_b64 v[1:2], v0, s[4:5] scope:SCOPE_SYS
	s_wait_loadcnt 0x0
	s_wait_alu 0xfffe
	v_cmp_ne_u64_e32 vcc_lo, s[8:9], v[1:2]
	s_cbranch_vccnz .LBB1_1929
; %bb.1930:                             ;   in Loop: Header=BB1_1 Depth=1
	v_dual_mov_b32 v1, s8 :: v_dual_mov_b32 v2, s9
	s_add_co_i32 s8, s2, 0x3c5
	s_mov_b32 s9, s3
	global_store_b64 v0, v[1:2], s[6:7] scope:SCOPE_SYS
.LBB1_1931:                             ;   Parent Loop BB1_1 Depth=1
                                        ; =>  This Inner Loop Header: Depth=2
	global_load_b64 v[1:2], v0, s[4:5] scope:SCOPE_SYS
	s_wait_loadcnt 0x0
	s_wait_alu 0xfffe
	v_cmp_ne_u64_e32 vcc_lo, s[8:9], v[1:2]
	s_cbranch_vccnz .LBB1_1931
; %bb.1932:                             ;   in Loop: Header=BB1_1 Depth=1
	v_dual_mov_b32 v1, s8 :: v_dual_mov_b32 v2, s9
	s_add_co_i32 s8, s2, 0x3c6
	s_mov_b32 s9, s3
	global_store_b64 v0, v[1:2], s[6:7] scope:SCOPE_SYS
.LBB1_1933:                             ;   Parent Loop BB1_1 Depth=1
                                        ; =>  This Inner Loop Header: Depth=2
	global_load_b64 v[1:2], v0, s[4:5] scope:SCOPE_SYS
	s_wait_loadcnt 0x0
	s_wait_alu 0xfffe
	v_cmp_ne_u64_e32 vcc_lo, s[8:9], v[1:2]
	s_cbranch_vccnz .LBB1_1933
; %bb.1934:                             ;   in Loop: Header=BB1_1 Depth=1
	v_dual_mov_b32 v1, s8 :: v_dual_mov_b32 v2, s9
	s_add_co_i32 s8, s2, 0x3c7
	s_mov_b32 s9, s3
	global_store_b64 v0, v[1:2], s[6:7] scope:SCOPE_SYS
.LBB1_1935:                             ;   Parent Loop BB1_1 Depth=1
                                        ; =>  This Inner Loop Header: Depth=2
	global_load_b64 v[1:2], v0, s[4:5] scope:SCOPE_SYS
	s_wait_loadcnt 0x0
	s_wait_alu 0xfffe
	v_cmp_ne_u64_e32 vcc_lo, s[8:9], v[1:2]
	s_cbranch_vccnz .LBB1_1935
; %bb.1936:                             ;   in Loop: Header=BB1_1 Depth=1
	v_dual_mov_b32 v1, s8 :: v_dual_mov_b32 v2, s9
	s_add_co_i32 s8, s2, 0x3c8
	s_mov_b32 s9, s3
	global_store_b64 v0, v[1:2], s[6:7] scope:SCOPE_SYS
.LBB1_1937:                             ;   Parent Loop BB1_1 Depth=1
                                        ; =>  This Inner Loop Header: Depth=2
	global_load_b64 v[1:2], v0, s[4:5] scope:SCOPE_SYS
	s_wait_loadcnt 0x0
	s_wait_alu 0xfffe
	v_cmp_ne_u64_e32 vcc_lo, s[8:9], v[1:2]
	s_cbranch_vccnz .LBB1_1937
; %bb.1938:                             ;   in Loop: Header=BB1_1 Depth=1
	v_dual_mov_b32 v1, s8 :: v_dual_mov_b32 v2, s9
	s_add_co_i32 s8, s2, 0x3c9
	s_mov_b32 s9, s3
	global_store_b64 v0, v[1:2], s[6:7] scope:SCOPE_SYS
.LBB1_1939:                             ;   Parent Loop BB1_1 Depth=1
                                        ; =>  This Inner Loop Header: Depth=2
	global_load_b64 v[1:2], v0, s[4:5] scope:SCOPE_SYS
	s_wait_loadcnt 0x0
	s_wait_alu 0xfffe
	v_cmp_ne_u64_e32 vcc_lo, s[8:9], v[1:2]
	s_cbranch_vccnz .LBB1_1939
; %bb.1940:                             ;   in Loop: Header=BB1_1 Depth=1
	v_dual_mov_b32 v1, s8 :: v_dual_mov_b32 v2, s9
	s_add_co_i32 s8, s2, 0x3ca
	s_mov_b32 s9, s3
	global_store_b64 v0, v[1:2], s[6:7] scope:SCOPE_SYS
.LBB1_1941:                             ;   Parent Loop BB1_1 Depth=1
                                        ; =>  This Inner Loop Header: Depth=2
	global_load_b64 v[1:2], v0, s[4:5] scope:SCOPE_SYS
	s_wait_loadcnt 0x0
	s_wait_alu 0xfffe
	v_cmp_ne_u64_e32 vcc_lo, s[8:9], v[1:2]
	s_cbranch_vccnz .LBB1_1941
; %bb.1942:                             ;   in Loop: Header=BB1_1 Depth=1
	v_dual_mov_b32 v1, s8 :: v_dual_mov_b32 v2, s9
	s_add_co_i32 s8, s2, 0x3cb
	s_mov_b32 s9, s3
	global_store_b64 v0, v[1:2], s[6:7] scope:SCOPE_SYS
.LBB1_1943:                             ;   Parent Loop BB1_1 Depth=1
                                        ; =>  This Inner Loop Header: Depth=2
	global_load_b64 v[1:2], v0, s[4:5] scope:SCOPE_SYS
	s_wait_loadcnt 0x0
	s_wait_alu 0xfffe
	v_cmp_ne_u64_e32 vcc_lo, s[8:9], v[1:2]
	s_cbranch_vccnz .LBB1_1943
; %bb.1944:                             ;   in Loop: Header=BB1_1 Depth=1
	v_dual_mov_b32 v1, s8 :: v_dual_mov_b32 v2, s9
	s_add_co_i32 s8, s2, 0x3cc
	s_mov_b32 s9, s3
	global_store_b64 v0, v[1:2], s[6:7] scope:SCOPE_SYS
.LBB1_1945:                             ;   Parent Loop BB1_1 Depth=1
                                        ; =>  This Inner Loop Header: Depth=2
	global_load_b64 v[1:2], v0, s[4:5] scope:SCOPE_SYS
	s_wait_loadcnt 0x0
	s_wait_alu 0xfffe
	v_cmp_ne_u64_e32 vcc_lo, s[8:9], v[1:2]
	s_cbranch_vccnz .LBB1_1945
; %bb.1946:                             ;   in Loop: Header=BB1_1 Depth=1
	v_dual_mov_b32 v1, s8 :: v_dual_mov_b32 v2, s9
	s_add_co_i32 s8, s2, 0x3cd
	s_mov_b32 s9, s3
	global_store_b64 v0, v[1:2], s[6:7] scope:SCOPE_SYS
.LBB1_1947:                             ;   Parent Loop BB1_1 Depth=1
                                        ; =>  This Inner Loop Header: Depth=2
	global_load_b64 v[1:2], v0, s[4:5] scope:SCOPE_SYS
	s_wait_loadcnt 0x0
	s_wait_alu 0xfffe
	v_cmp_ne_u64_e32 vcc_lo, s[8:9], v[1:2]
	s_cbranch_vccnz .LBB1_1947
; %bb.1948:                             ;   in Loop: Header=BB1_1 Depth=1
	v_dual_mov_b32 v1, s8 :: v_dual_mov_b32 v2, s9
	s_add_co_i32 s8, s2, 0x3ce
	s_mov_b32 s9, s3
	global_store_b64 v0, v[1:2], s[6:7] scope:SCOPE_SYS
.LBB1_1949:                             ;   Parent Loop BB1_1 Depth=1
                                        ; =>  This Inner Loop Header: Depth=2
	global_load_b64 v[1:2], v0, s[4:5] scope:SCOPE_SYS
	s_wait_loadcnt 0x0
	s_wait_alu 0xfffe
	v_cmp_ne_u64_e32 vcc_lo, s[8:9], v[1:2]
	s_cbranch_vccnz .LBB1_1949
; %bb.1950:                             ;   in Loop: Header=BB1_1 Depth=1
	v_dual_mov_b32 v1, s8 :: v_dual_mov_b32 v2, s9
	s_add_co_i32 s8, s2, 0x3cf
	s_mov_b32 s9, s3
	global_store_b64 v0, v[1:2], s[6:7] scope:SCOPE_SYS
.LBB1_1951:                             ;   Parent Loop BB1_1 Depth=1
                                        ; =>  This Inner Loop Header: Depth=2
	global_load_b64 v[1:2], v0, s[4:5] scope:SCOPE_SYS
	s_wait_loadcnt 0x0
	s_wait_alu 0xfffe
	v_cmp_ne_u64_e32 vcc_lo, s[8:9], v[1:2]
	s_cbranch_vccnz .LBB1_1951
; %bb.1952:                             ;   in Loop: Header=BB1_1 Depth=1
	v_dual_mov_b32 v1, s8 :: v_dual_mov_b32 v2, s9
	s_add_co_i32 s8, s2, 0x3d0
	s_mov_b32 s9, s3
	global_store_b64 v0, v[1:2], s[6:7] scope:SCOPE_SYS
.LBB1_1953:                             ;   Parent Loop BB1_1 Depth=1
                                        ; =>  This Inner Loop Header: Depth=2
	global_load_b64 v[1:2], v0, s[4:5] scope:SCOPE_SYS
	s_wait_loadcnt 0x0
	s_wait_alu 0xfffe
	v_cmp_ne_u64_e32 vcc_lo, s[8:9], v[1:2]
	s_cbranch_vccnz .LBB1_1953
; %bb.1954:                             ;   in Loop: Header=BB1_1 Depth=1
	v_dual_mov_b32 v1, s8 :: v_dual_mov_b32 v2, s9
	s_add_co_i32 s8, s2, 0x3d1
	s_mov_b32 s9, s3
	global_store_b64 v0, v[1:2], s[6:7] scope:SCOPE_SYS
.LBB1_1955:                             ;   Parent Loop BB1_1 Depth=1
                                        ; =>  This Inner Loop Header: Depth=2
	global_load_b64 v[1:2], v0, s[4:5] scope:SCOPE_SYS
	s_wait_loadcnt 0x0
	s_wait_alu 0xfffe
	v_cmp_ne_u64_e32 vcc_lo, s[8:9], v[1:2]
	s_cbranch_vccnz .LBB1_1955
; %bb.1956:                             ;   in Loop: Header=BB1_1 Depth=1
	v_dual_mov_b32 v1, s8 :: v_dual_mov_b32 v2, s9
	s_add_co_i32 s8, s2, 0x3d2
	s_mov_b32 s9, s3
	global_store_b64 v0, v[1:2], s[6:7] scope:SCOPE_SYS
.LBB1_1957:                             ;   Parent Loop BB1_1 Depth=1
                                        ; =>  This Inner Loop Header: Depth=2
	global_load_b64 v[1:2], v0, s[4:5] scope:SCOPE_SYS
	s_wait_loadcnt 0x0
	s_wait_alu 0xfffe
	v_cmp_ne_u64_e32 vcc_lo, s[8:9], v[1:2]
	s_cbranch_vccnz .LBB1_1957
; %bb.1958:                             ;   in Loop: Header=BB1_1 Depth=1
	v_dual_mov_b32 v1, s8 :: v_dual_mov_b32 v2, s9
	s_add_co_i32 s8, s2, 0x3d3
	s_mov_b32 s9, s3
	global_store_b64 v0, v[1:2], s[6:7] scope:SCOPE_SYS
.LBB1_1959:                             ;   Parent Loop BB1_1 Depth=1
                                        ; =>  This Inner Loop Header: Depth=2
	global_load_b64 v[1:2], v0, s[4:5] scope:SCOPE_SYS
	s_wait_loadcnt 0x0
	s_wait_alu 0xfffe
	v_cmp_ne_u64_e32 vcc_lo, s[8:9], v[1:2]
	s_cbranch_vccnz .LBB1_1959
; %bb.1960:                             ;   in Loop: Header=BB1_1 Depth=1
	v_dual_mov_b32 v1, s8 :: v_dual_mov_b32 v2, s9
	s_add_co_i32 s8, s2, 0x3d4
	s_mov_b32 s9, s3
	global_store_b64 v0, v[1:2], s[6:7] scope:SCOPE_SYS
.LBB1_1961:                             ;   Parent Loop BB1_1 Depth=1
                                        ; =>  This Inner Loop Header: Depth=2
	global_load_b64 v[1:2], v0, s[4:5] scope:SCOPE_SYS
	s_wait_loadcnt 0x0
	s_wait_alu 0xfffe
	v_cmp_ne_u64_e32 vcc_lo, s[8:9], v[1:2]
	s_cbranch_vccnz .LBB1_1961
; %bb.1962:                             ;   in Loop: Header=BB1_1 Depth=1
	v_dual_mov_b32 v1, s8 :: v_dual_mov_b32 v2, s9
	s_add_co_i32 s8, s2, 0x3d5
	s_mov_b32 s9, s3
	global_store_b64 v0, v[1:2], s[6:7] scope:SCOPE_SYS
.LBB1_1963:                             ;   Parent Loop BB1_1 Depth=1
                                        ; =>  This Inner Loop Header: Depth=2
	global_load_b64 v[1:2], v0, s[4:5] scope:SCOPE_SYS
	s_wait_loadcnt 0x0
	s_wait_alu 0xfffe
	v_cmp_ne_u64_e32 vcc_lo, s[8:9], v[1:2]
	s_cbranch_vccnz .LBB1_1963
; %bb.1964:                             ;   in Loop: Header=BB1_1 Depth=1
	v_dual_mov_b32 v1, s8 :: v_dual_mov_b32 v2, s9
	s_add_co_i32 s8, s2, 0x3d6
	s_mov_b32 s9, s3
	global_store_b64 v0, v[1:2], s[6:7] scope:SCOPE_SYS
.LBB1_1965:                             ;   Parent Loop BB1_1 Depth=1
                                        ; =>  This Inner Loop Header: Depth=2
	global_load_b64 v[1:2], v0, s[4:5] scope:SCOPE_SYS
	s_wait_loadcnt 0x0
	s_wait_alu 0xfffe
	v_cmp_ne_u64_e32 vcc_lo, s[8:9], v[1:2]
	s_cbranch_vccnz .LBB1_1965
; %bb.1966:                             ;   in Loop: Header=BB1_1 Depth=1
	v_dual_mov_b32 v1, s8 :: v_dual_mov_b32 v2, s9
	s_add_co_i32 s8, s2, 0x3d7
	s_mov_b32 s9, s3
	global_store_b64 v0, v[1:2], s[6:7] scope:SCOPE_SYS
.LBB1_1967:                             ;   Parent Loop BB1_1 Depth=1
                                        ; =>  This Inner Loop Header: Depth=2
	global_load_b64 v[1:2], v0, s[4:5] scope:SCOPE_SYS
	s_wait_loadcnt 0x0
	s_wait_alu 0xfffe
	v_cmp_ne_u64_e32 vcc_lo, s[8:9], v[1:2]
	s_cbranch_vccnz .LBB1_1967
; %bb.1968:                             ;   in Loop: Header=BB1_1 Depth=1
	v_dual_mov_b32 v1, s8 :: v_dual_mov_b32 v2, s9
	s_add_co_i32 s8, s2, 0x3d8
	s_mov_b32 s9, s3
	global_store_b64 v0, v[1:2], s[6:7] scope:SCOPE_SYS
.LBB1_1969:                             ;   Parent Loop BB1_1 Depth=1
                                        ; =>  This Inner Loop Header: Depth=2
	global_load_b64 v[1:2], v0, s[4:5] scope:SCOPE_SYS
	s_wait_loadcnt 0x0
	s_wait_alu 0xfffe
	v_cmp_ne_u64_e32 vcc_lo, s[8:9], v[1:2]
	s_cbranch_vccnz .LBB1_1969
; %bb.1970:                             ;   in Loop: Header=BB1_1 Depth=1
	v_dual_mov_b32 v1, s8 :: v_dual_mov_b32 v2, s9
	s_add_co_i32 s8, s2, 0x3d9
	s_mov_b32 s9, s3
	global_store_b64 v0, v[1:2], s[6:7] scope:SCOPE_SYS
.LBB1_1971:                             ;   Parent Loop BB1_1 Depth=1
                                        ; =>  This Inner Loop Header: Depth=2
	global_load_b64 v[1:2], v0, s[4:5] scope:SCOPE_SYS
	s_wait_loadcnt 0x0
	s_wait_alu 0xfffe
	v_cmp_ne_u64_e32 vcc_lo, s[8:9], v[1:2]
	s_cbranch_vccnz .LBB1_1971
; %bb.1972:                             ;   in Loop: Header=BB1_1 Depth=1
	v_dual_mov_b32 v1, s8 :: v_dual_mov_b32 v2, s9
	s_add_co_i32 s8, s2, 0x3da
	s_mov_b32 s9, s3
	global_store_b64 v0, v[1:2], s[6:7] scope:SCOPE_SYS
.LBB1_1973:                             ;   Parent Loop BB1_1 Depth=1
                                        ; =>  This Inner Loop Header: Depth=2
	global_load_b64 v[1:2], v0, s[4:5] scope:SCOPE_SYS
	s_wait_loadcnt 0x0
	s_wait_alu 0xfffe
	v_cmp_ne_u64_e32 vcc_lo, s[8:9], v[1:2]
	s_cbranch_vccnz .LBB1_1973
; %bb.1974:                             ;   in Loop: Header=BB1_1 Depth=1
	v_dual_mov_b32 v1, s8 :: v_dual_mov_b32 v2, s9
	s_add_co_i32 s8, s2, 0x3db
	s_mov_b32 s9, s3
	global_store_b64 v0, v[1:2], s[6:7] scope:SCOPE_SYS
.LBB1_1975:                             ;   Parent Loop BB1_1 Depth=1
                                        ; =>  This Inner Loop Header: Depth=2
	global_load_b64 v[1:2], v0, s[4:5] scope:SCOPE_SYS
	s_wait_loadcnt 0x0
	s_wait_alu 0xfffe
	v_cmp_ne_u64_e32 vcc_lo, s[8:9], v[1:2]
	s_cbranch_vccnz .LBB1_1975
; %bb.1976:                             ;   in Loop: Header=BB1_1 Depth=1
	v_dual_mov_b32 v1, s8 :: v_dual_mov_b32 v2, s9
	s_add_co_i32 s8, s2, 0x3dc
	s_mov_b32 s9, s3
	global_store_b64 v0, v[1:2], s[6:7] scope:SCOPE_SYS
.LBB1_1977:                             ;   Parent Loop BB1_1 Depth=1
                                        ; =>  This Inner Loop Header: Depth=2
	global_load_b64 v[1:2], v0, s[4:5] scope:SCOPE_SYS
	s_wait_loadcnt 0x0
	s_wait_alu 0xfffe
	v_cmp_ne_u64_e32 vcc_lo, s[8:9], v[1:2]
	s_cbranch_vccnz .LBB1_1977
; %bb.1978:                             ;   in Loop: Header=BB1_1 Depth=1
	v_dual_mov_b32 v1, s8 :: v_dual_mov_b32 v2, s9
	s_add_co_i32 s8, s2, 0x3dd
	s_mov_b32 s9, s3
	global_store_b64 v0, v[1:2], s[6:7] scope:SCOPE_SYS
.LBB1_1979:                             ;   Parent Loop BB1_1 Depth=1
                                        ; =>  This Inner Loop Header: Depth=2
	global_load_b64 v[1:2], v0, s[4:5] scope:SCOPE_SYS
	s_wait_loadcnt 0x0
	s_wait_alu 0xfffe
	v_cmp_ne_u64_e32 vcc_lo, s[8:9], v[1:2]
	s_cbranch_vccnz .LBB1_1979
; %bb.1980:                             ;   in Loop: Header=BB1_1 Depth=1
	v_dual_mov_b32 v1, s8 :: v_dual_mov_b32 v2, s9
	s_add_co_i32 s8, s2, 0x3de
	s_mov_b32 s9, s3
	global_store_b64 v0, v[1:2], s[6:7] scope:SCOPE_SYS
.LBB1_1981:                             ;   Parent Loop BB1_1 Depth=1
                                        ; =>  This Inner Loop Header: Depth=2
	global_load_b64 v[1:2], v0, s[4:5] scope:SCOPE_SYS
	s_wait_loadcnt 0x0
	s_wait_alu 0xfffe
	v_cmp_ne_u64_e32 vcc_lo, s[8:9], v[1:2]
	s_cbranch_vccnz .LBB1_1981
; %bb.1982:                             ;   in Loop: Header=BB1_1 Depth=1
	v_dual_mov_b32 v1, s8 :: v_dual_mov_b32 v2, s9
	s_add_co_i32 s8, s2, 0x3df
	s_mov_b32 s9, s3
	global_store_b64 v0, v[1:2], s[6:7] scope:SCOPE_SYS
.LBB1_1983:                             ;   Parent Loop BB1_1 Depth=1
                                        ; =>  This Inner Loop Header: Depth=2
	global_load_b64 v[1:2], v0, s[4:5] scope:SCOPE_SYS
	s_wait_loadcnt 0x0
	s_wait_alu 0xfffe
	v_cmp_ne_u64_e32 vcc_lo, s[8:9], v[1:2]
	s_cbranch_vccnz .LBB1_1983
; %bb.1984:                             ;   in Loop: Header=BB1_1 Depth=1
	v_dual_mov_b32 v1, s8 :: v_dual_mov_b32 v2, s9
	s_add_co_i32 s8, s2, 0x3e0
	s_mov_b32 s9, s3
	global_store_b64 v0, v[1:2], s[6:7] scope:SCOPE_SYS
.LBB1_1985:                             ;   Parent Loop BB1_1 Depth=1
                                        ; =>  This Inner Loop Header: Depth=2
	global_load_b64 v[1:2], v0, s[4:5] scope:SCOPE_SYS
	s_wait_loadcnt 0x0
	s_wait_alu 0xfffe
	v_cmp_ne_u64_e32 vcc_lo, s[8:9], v[1:2]
	s_cbranch_vccnz .LBB1_1985
; %bb.1986:                             ;   in Loop: Header=BB1_1 Depth=1
	v_dual_mov_b32 v1, s8 :: v_dual_mov_b32 v2, s9
	s_add_co_i32 s8, s2, 0x3e1
	s_mov_b32 s9, s3
	global_store_b64 v0, v[1:2], s[6:7] scope:SCOPE_SYS
.LBB1_1987:                             ;   Parent Loop BB1_1 Depth=1
                                        ; =>  This Inner Loop Header: Depth=2
	global_load_b64 v[1:2], v0, s[4:5] scope:SCOPE_SYS
	s_wait_loadcnt 0x0
	s_wait_alu 0xfffe
	v_cmp_ne_u64_e32 vcc_lo, s[8:9], v[1:2]
	s_cbranch_vccnz .LBB1_1987
; %bb.1988:                             ;   in Loop: Header=BB1_1 Depth=1
	v_dual_mov_b32 v1, s8 :: v_dual_mov_b32 v2, s9
	s_add_co_i32 s8, s2, 0x3e2
	s_mov_b32 s9, s3
	global_store_b64 v0, v[1:2], s[6:7] scope:SCOPE_SYS
.LBB1_1989:                             ;   Parent Loop BB1_1 Depth=1
                                        ; =>  This Inner Loop Header: Depth=2
	global_load_b64 v[1:2], v0, s[4:5] scope:SCOPE_SYS
	s_wait_loadcnt 0x0
	s_wait_alu 0xfffe
	v_cmp_ne_u64_e32 vcc_lo, s[8:9], v[1:2]
	s_cbranch_vccnz .LBB1_1989
; %bb.1990:                             ;   in Loop: Header=BB1_1 Depth=1
	v_dual_mov_b32 v1, s8 :: v_dual_mov_b32 v2, s9
	s_add_co_i32 s8, s2, 0x3e3
	s_mov_b32 s9, s3
	global_store_b64 v0, v[1:2], s[6:7] scope:SCOPE_SYS
.LBB1_1991:                             ;   Parent Loop BB1_1 Depth=1
                                        ; =>  This Inner Loop Header: Depth=2
	global_load_b64 v[1:2], v0, s[4:5] scope:SCOPE_SYS
	s_wait_loadcnt 0x0
	s_wait_alu 0xfffe
	v_cmp_ne_u64_e32 vcc_lo, s[8:9], v[1:2]
	s_cbranch_vccnz .LBB1_1991
; %bb.1992:                             ;   in Loop: Header=BB1_1 Depth=1
	v_dual_mov_b32 v1, s8 :: v_dual_mov_b32 v2, s9
	s_add_co_i32 s8, s2, 0x3e4
	s_mov_b32 s9, s3
	global_store_b64 v0, v[1:2], s[6:7] scope:SCOPE_SYS
.LBB1_1993:                             ;   Parent Loop BB1_1 Depth=1
                                        ; =>  This Inner Loop Header: Depth=2
	global_load_b64 v[1:2], v0, s[4:5] scope:SCOPE_SYS
	s_wait_loadcnt 0x0
	s_wait_alu 0xfffe
	v_cmp_ne_u64_e32 vcc_lo, s[8:9], v[1:2]
	s_cbranch_vccnz .LBB1_1993
; %bb.1994:                             ;   in Loop: Header=BB1_1 Depth=1
	v_dual_mov_b32 v1, s8 :: v_dual_mov_b32 v2, s9
	s_add_co_i32 s8, s2, 0x3e5
	s_mov_b32 s9, s3
	global_store_b64 v0, v[1:2], s[6:7] scope:SCOPE_SYS
.LBB1_1995:                             ;   Parent Loop BB1_1 Depth=1
                                        ; =>  This Inner Loop Header: Depth=2
	global_load_b64 v[1:2], v0, s[4:5] scope:SCOPE_SYS
	s_wait_loadcnt 0x0
	s_wait_alu 0xfffe
	v_cmp_ne_u64_e32 vcc_lo, s[8:9], v[1:2]
	s_cbranch_vccnz .LBB1_1995
; %bb.1996:                             ;   in Loop: Header=BB1_1 Depth=1
	v_dual_mov_b32 v1, s8 :: v_dual_mov_b32 v2, s9
	s_add_co_i32 s8, s2, 0x3e6
	s_mov_b32 s9, s3
	global_store_b64 v0, v[1:2], s[6:7] scope:SCOPE_SYS
.LBB1_1997:                             ;   Parent Loop BB1_1 Depth=1
                                        ; =>  This Inner Loop Header: Depth=2
	global_load_b64 v[1:2], v0, s[4:5] scope:SCOPE_SYS
	s_wait_loadcnt 0x0
	s_wait_alu 0xfffe
	v_cmp_ne_u64_e32 vcc_lo, s[8:9], v[1:2]
	s_cbranch_vccnz .LBB1_1997
; %bb.1998:                             ;   in Loop: Header=BB1_1 Depth=1
	v_dual_mov_b32 v1, s8 :: v_dual_mov_b32 v2, s9
	s_add_co_i32 s8, s2, 0x3e7
	s_mov_b32 s9, s3
	global_store_b64 v0, v[1:2], s[6:7] scope:SCOPE_SYS
.LBB1_1999:                             ;   Parent Loop BB1_1 Depth=1
                                        ; =>  This Inner Loop Header: Depth=2
	global_load_b64 v[1:2], v0, s[4:5] scope:SCOPE_SYS
	s_wait_loadcnt 0x0
	s_wait_alu 0xfffe
	v_cmp_ne_u64_e32 vcc_lo, s[8:9], v[1:2]
	s_cbranch_vccnz .LBB1_1999
; %bb.2000:                             ;   in Loop: Header=BB1_1 Depth=1
	v_dual_mov_b32 v1, s8 :: v_dual_mov_b32 v2, s9
	s_addk_co_i32 s2, 0x3e8
	s_wait_alu 0xfffe
	s_cmp_eq_u32 s2, 0x7d1
	global_store_b64 v0, v[1:2], s[6:7] scope:SCOPE_SYS
	s_cbranch_scc0 .LBB1_1
; %bb.2001:
	v_mov_b32_e32 v0, 0
	s_movk_i32 s8, 0x7d1
	s_sendmsg_rtn_b64 s[2:3], sendmsg(MSG_RTN_GET_REALTIME)
	s_mov_b32 s9, 0
.LBB1_2002:                             ; =>This Loop Header: Depth=1
                                        ;     Child Loop BB1_2004 Depth 2
                                        ;     Child Loop BB1_2006 Depth 2
	;; [unrolled: 1-line block ×1249, first 2 shown]
	global_load_b64 v[1:2], v0, s[4:5] scope:SCOPE_SYS
	s_wait_loadcnt 0x0
	s_wait_alu 0xfffe
	v_cmp_ne_u64_e32 vcc_lo, s[8:9], v[1:2]
	s_cbranch_vccnz .LBB1_2002
; %bb.2003:                             ;   in Loop: Header=BB1_2002 Depth=1
	v_dual_mov_b32 v1, s8 :: v_dual_mov_b32 v2, s9
	s_add_co_i32 s10, s8, 1
	s_mov_b32 s11, s9
	global_store_b64 v0, v[1:2], s[6:7] scope:SCOPE_SYS
.LBB1_2004:                             ;   Parent Loop BB1_2002 Depth=1
                                        ; =>  This Inner Loop Header: Depth=2
	global_load_b64 v[1:2], v0, s[4:5] scope:SCOPE_SYS
	s_wait_loadcnt 0x0
	s_wait_alu 0xfffe
	v_cmp_ne_u64_e32 vcc_lo, s[10:11], v[1:2]
	s_cbranch_vccnz .LBB1_2004
; %bb.2005:                             ;   in Loop: Header=BB1_2002 Depth=1
	v_dual_mov_b32 v1, s10 :: v_dual_mov_b32 v2, s11
	s_add_co_i32 s10, s8, 2
	s_mov_b32 s11, s9
	global_store_b64 v0, v[1:2], s[6:7] scope:SCOPE_SYS
.LBB1_2006:                             ;   Parent Loop BB1_2002 Depth=1
                                        ; =>  This Inner Loop Header: Depth=2
	global_load_b64 v[1:2], v0, s[4:5] scope:SCOPE_SYS
	s_wait_loadcnt 0x0
	s_wait_alu 0xfffe
	v_cmp_ne_u64_e32 vcc_lo, s[10:11], v[1:2]
	s_cbranch_vccnz .LBB1_2006
	;; [unrolled: 12-line block ×1249, first 2 shown]
; %bb.4501:                             ;   in Loop: Header=BB1_2002 Depth=1
	v_dual_mov_b32 v1, s10 :: v_dual_mov_b32 v2, s11
	s_addk_co_i32 s8, 0x4e2
	s_wait_alu 0xfffe
	s_cmp_eq_u32 s8, 0x2ee1
	global_store_b64 v0, v[1:2], s[6:7] scope:SCOPE_SYS
	s_cbranch_scc0 .LBB1_2002
; %bb.4502:
	s_sendmsg_rtn_b64 s[4:5], sendmsg(MSG_RTN_GET_REALTIME)
	s_wait_kmcnt 0x0
	s_sub_nc_u64 s[2:3], s[4:5], s[2:3]
	v_mov_b32_e32 v2, 0
	s_wait_alu 0xfffe
	v_dual_mov_b32 v0, s2 :: v_dual_mov_b32 v1, s3
	global_store_b64 v2, v[0:1], s[0:1]
	s_endpgm
	.section	.rodata,"a",@progbits
	.p2align	6, 0x0
	.amdhsa_kernel _Z10PongKernelPmS_S_
		.amdhsa_group_segment_fixed_size 0
		.amdhsa_private_segment_fixed_size 0
		.amdhsa_kernarg_size 24
		.amdhsa_user_sgpr_count 2
		.amdhsa_user_sgpr_dispatch_ptr 0
		.amdhsa_user_sgpr_queue_ptr 0
		.amdhsa_user_sgpr_kernarg_segment_ptr 1
		.amdhsa_user_sgpr_dispatch_id 0
		.amdhsa_user_sgpr_private_segment_size 0
		.amdhsa_wavefront_size32 1
		.amdhsa_uses_dynamic_stack 0
		.amdhsa_enable_private_segment 0
		.amdhsa_system_sgpr_workgroup_id_x 1
		.amdhsa_system_sgpr_workgroup_id_y 0
		.amdhsa_system_sgpr_workgroup_id_z 0
		.amdhsa_system_sgpr_workgroup_info 0
		.amdhsa_system_vgpr_workitem_id 0
		.amdhsa_next_free_vgpr 3
		.amdhsa_next_free_sgpr 12
		.amdhsa_reserve_vcc 1
		.amdhsa_float_round_mode_32 0
		.amdhsa_float_round_mode_16_64 0
		.amdhsa_float_denorm_mode_32 3
		.amdhsa_float_denorm_mode_16_64 3
		.amdhsa_fp16_overflow 0
		.amdhsa_workgroup_processor_mode 1
		.amdhsa_memory_ordered 1
		.amdhsa_forward_progress 1
		.amdhsa_inst_pref_size 255
		.amdhsa_round_robin_scheduling 0
		.amdhsa_exception_fp_ieee_invalid_op 0
		.amdhsa_exception_fp_denorm_src 0
		.amdhsa_exception_fp_ieee_div_zero 0
		.amdhsa_exception_fp_ieee_overflow 0
		.amdhsa_exception_fp_ieee_underflow 0
		.amdhsa_exception_fp_ieee_inexact 0
		.amdhsa_exception_int_div_zero 0
	.end_amdhsa_kernel
	.text
.Lfunc_end1:
	.size	_Z10PongKernelPmS_S_, .Lfunc_end1-_Z10PongKernelPmS_S_
                                        ; -- End function
	.set _Z10PongKernelPmS_S_.num_vgpr, 3
	.set _Z10PongKernelPmS_S_.num_agpr, 0
	.set _Z10PongKernelPmS_S_.numbered_sgpr, 12
	.set _Z10PongKernelPmS_S_.num_named_barrier, 0
	.set _Z10PongKernelPmS_S_.private_seg_size, 0
	.set _Z10PongKernelPmS_S_.uses_vcc, 1
	.set _Z10PongKernelPmS_S_.uses_flat_scratch, 0
	.set _Z10PongKernelPmS_S_.has_dyn_sized_stack, 0
	.set _Z10PongKernelPmS_S_.has_recursion, 0
	.set _Z10PongKernelPmS_S_.has_indirect_call, 0
	.section	.AMDGPU.csdata,"",@progbits
; Kernel info:
; codeLenInByte = 134596
; TotalNumSgprs: 14
; NumVgprs: 3
; ScratchSize: 0
; MemoryBound: 1
; FloatMode: 240
; IeeeMode: 1
; LDSByteSize: 0 bytes/workgroup (compile time only)
; SGPRBlocks: 0
; VGPRBlocks: 0
; NumSGPRsForWavesPerEU: 14
; NumVGPRsForWavesPerEU: 3
; Occupancy: 16
; WaveLimiterHint : 0
; COMPUTE_PGM_RSRC2:SCRATCH_EN: 0
; COMPUTE_PGM_RSRC2:USER_SGPR: 2
; COMPUTE_PGM_RSRC2:TRAP_HANDLER: 0
; COMPUTE_PGM_RSRC2:TGID_X_EN: 1
; COMPUTE_PGM_RSRC2:TGID_Y_EN: 0
; COMPUTE_PGM_RSRC2:TGID_Z_EN: 0
; COMPUTE_PGM_RSRC2:TIDIG_COMP_CNT: 0
	.text
	.p2alignl 7, 3214868480
	.fill 96, 4, 3214868480
	.section	.AMDGPU.gpr_maximums,"",@progbits
	.set amdgpu.max_num_vgpr, 0
	.set amdgpu.max_num_agpr, 0
	.set amdgpu.max_num_sgpr, 0
	.text
	.type	__hip_cuid_f97a5f73d97210aa,@object ; @__hip_cuid_f97a5f73d97210aa
	.section	.bss,"aw",@nobits
	.globl	__hip_cuid_f97a5f73d97210aa
__hip_cuid_f97a5f73d97210aa:
	.byte	0                               ; 0x0
	.size	__hip_cuid_f97a5f73d97210aa, 1

	.ident	"AMD clang version 22.0.0git (https://github.com/RadeonOpenCompute/llvm-project roc-7.2.4 26084 f58b06dce1f9c15707c5f808fd002e18c2accf7e)"
	.section	".note.GNU-stack","",@progbits
	.addrsig
	.addrsig_sym __hip_cuid_f97a5f73d97210aa
	.amdgpu_metadata
---
amdhsa.kernels:
  - .args:
      - .address_space:  global
        .offset:         0
        .size:           8
        .value_kind:     global_buffer
      - .address_space:  global
        .offset:         8
        .size:           8
        .value_kind:     global_buffer
      - .address_space:  global
        .offset:         16
        .size:           8
        .value_kind:     global_buffer
    .group_segment_fixed_size: 0
    .kernarg_segment_align: 8
    .kernarg_segment_size: 24
    .language:       OpenCL C
    .language_version:
      - 2
      - 0
    .max_flat_workgroup_size: 1024
    .name:           _Z10PingKernelPmS_S_
    .private_segment_fixed_size: 0
    .sgpr_count:     14
    .sgpr_spill_count: 0
    .symbol:         _Z10PingKernelPmS_S_.kd
    .uniform_work_group_size: 1
    .uses_dynamic_stack: false
    .vgpr_count:     3
    .vgpr_spill_count: 0
    .wavefront_size: 32
    .workgroup_processor_mode: 1
  - .args:
      - .address_space:  global
        .offset:         0
        .size:           8
        .value_kind:     global_buffer
      - .address_space:  global
        .offset:         8
        .size:           8
        .value_kind:     global_buffer
      - .address_space:  global
        .offset:         16
        .size:           8
        .value_kind:     global_buffer
    .group_segment_fixed_size: 0
    .kernarg_segment_align: 8
    .kernarg_segment_size: 24
    .language:       OpenCL C
    .language_version:
      - 2
      - 0
    .max_flat_workgroup_size: 1024
    .name:           _Z10PongKernelPmS_S_
    .private_segment_fixed_size: 0
    .sgpr_count:     14
    .sgpr_spill_count: 0
    .symbol:         _Z10PongKernelPmS_S_.kd
    .uniform_work_group_size: 1
    .uses_dynamic_stack: false
    .vgpr_count:     3
    .vgpr_spill_count: 0
    .wavefront_size: 32
    .workgroup_processor_mode: 1
amdhsa.target:   amdgcn-amd-amdhsa--gfx1201
amdhsa.version:
  - 1
  - 2
...

	.end_amdgpu_metadata
